;; amdgpu-corpus repo=ROCm/Tensile kind=harvested arch=n/a opt=n/a

/******************************************/
/* Function Prefix                        */
/******************************************/



/******************************************/
/* Begin Kernel                           */
/******************************************/

// Component.Signature.SignatureDefault
.amdgcn_target "amdgcn-amd-amdhsa--gfx942"
.text
.protected Cijk_Ailk_Bljk_SB_MT96x128x32_MI16x16x4x1_SN_1LDSB1_APM1_AF0EM1_AF1EM1_AMAS0_ASE_ASGT_ASLT097_ASM_ASAE01_ASCE01_ASEM1_BL1_BS1_CLR0_DTVA0_DTVB0_ETSP_EPS1_ELFLR0_EMLL0_FSSC10_FL0_GLVWA1_GLVWB1_GRCGA1_GRPM1_GRVWn1_GSU1_GSUASB_GLS0_IU1_K1_LBSPPA0_LBSPPB256_LPA16_LPB2_LRVW1_LWPMn1_MIAV0_MKFGSU256_NTA0_NTB0_NTC0_NTD0_NEPBS0_NLCA3_NLCB1_ONLL1_PGR1_PLR9_PKA0_SIA3_SLW1_SS0_SU32_SUM0_SUS256_SPO0_SRVW0_SSO0_SVW4_TSGRA0_TSGRB0_TT3_64_TLDS1_UMLDSA0_UMLDSB1_USFGROn1_VAW1_VSn1_VW1_VWB2_VFLRP0_WSGRA0_WSGRB0_WG32_8_1_WGM30
.globl Cijk_Ailk_Bljk_SB_MT96x128x32_MI16x16x4x1_SN_1LDSB1_APM1_AF0EM1_AF1EM1_AMAS0_ASE_ASGT_ASLT097_ASM_ASAE01_ASCE01_ASEM1_BL1_BS1_CLR0_DTVA0_DTVB0_ETSP_EPS1_ELFLR0_EMLL0_FSSC10_FL0_GLVWA1_GLVWB1_GRCGA1_GRPM1_GRVWn1_GSU1_GSUASB_GLS0_IU1_K1_LBSPPA0_LBSPPB256_LPA16_LPB2_LRVW1_LWPMn1_MIAV0_MKFGSU256_NTA0_NTB0_NTC0_NTD0_NEPBS0_NLCA3_NLCB1_ONLL1_PGR1_PLR9_PKA0_SIA3_SLW1_SS0_SU32_SUM0_SUS256_SPO0_SRVW0_SSO0_SVW4_TSGRA0_TSGRB0_TT3_64_TLDS1_UMLDSA0_UMLDSB1_USFGROn1_VAW1_VSn1_VW1_VWB2_VFLRP0_WSGRA0_WSGRB0_WG32_8_1_WGM30
.p2align 8
.type Cijk_Ailk_Bljk_SB_MT96x128x32_MI16x16x4x1_SN_1LDSB1_APM1_AF0EM1_AF1EM1_AMAS0_ASE_ASGT_ASLT097_ASM_ASAE01_ASCE01_ASEM1_BL1_BS1_CLR0_DTVA0_DTVB0_ETSP_EPS1_ELFLR0_EMLL0_FSSC10_FL0_GLVWA1_GLVWB1_GRCGA1_GRPM1_GRVWn1_GSU1_GSUASB_GLS0_IU1_K1_LBSPPA0_LBSPPB256_LPA16_LPB2_LRVW1_LWPMn1_MIAV0_MKFGSU256_NTA0_NTB0_NTC0_NTD0_NEPBS0_NLCA3_NLCB1_ONLL1_PGR1_PLR9_PKA0_SIA3_SLW1_SS0_SU32_SUM0_SUS256_SPO0_SRVW0_SSO0_SVW4_TSGRA0_TSGRB0_TT3_64_TLDS1_UMLDSA0_UMLDSB1_USFGROn1_VAW1_VSn1_VW1_VWB2_VFLRP0_WSGRA0_WSGRB0_WG32_8_1_WGM30,@function
.section .rodata,#alloc
.p2align 6
.amdhsa_kernel Cijk_Ailk_Bljk_SB_MT96x128x32_MI16x16x4x1_SN_1LDSB1_APM1_AF0EM1_AF1EM1_AMAS0_ASE_ASGT_ASLT097_ASM_ASAE01_ASCE01_ASEM1_BL1_BS1_CLR0_DTVA0_DTVB0_ETSP_EPS1_ELFLR0_EMLL0_FSSC10_FL0_GLVWA1_GLVWB1_GRCGA1_GRPM1_GRVWn1_GSU1_GSUASB_GLS0_IU1_K1_LBSPPA0_LBSPPB256_LPA16_LPB2_LRVW1_LWPMn1_MIAV0_MKFGSU256_NTA0_NTB0_NTC0_NTD0_NEPBS0_NLCA3_NLCB1_ONLL1_PGR1_PLR9_PKA0_SIA3_SLW1_SS0_SU32_SUM0_SUS256_SPO0_SRVW0_SSO0_SVW4_TSGRA0_TSGRB0_TT3_64_TLDS1_UMLDSA0_UMLDSB1_USFGROn1_VAW1_VSn1_VW1_VWB2_VFLRP0_WSGRA0_WSGRB0_WG32_8_1_WGM30
  .amdhsa_user_sgpr_kernarg_segment_ptr 1
  .amdhsa_user_sgpr_kernarg_preload_offset 0
  .amdhsa_user_sgpr_kernarg_preload_length 0
  .amdhsa_user_sgpr_count 2
  .amdhsa_accum_offset 208 // accvgpr offset
  .amdhsa_next_free_vgpr 256 // vgprs
  .amdhsa_next_free_sgpr 89 // sgprs
  .amdhsa_group_segment_fixed_size 31232 // lds bytes
  .amdhsa_private_segment_fixed_size 0
  .amdhsa_system_sgpr_workgroup_id_x 1
  .amdhsa_system_sgpr_workgroup_id_y 1
  .amdhsa_system_sgpr_workgroup_id_z 1
  .amdhsa_system_vgpr_workitem_id 0
  .amdhsa_float_denorm_mode_32 3
  .amdhsa_float_denorm_mode_16_64 3
.end_amdhsa_kernel
.text

/******************************************/
/* Optimizations and Config:              */
/******************************************/
/* ThreadTile= 12 x 4 */
/* SubGroup= 8 x 32 */
/* VectorWidthA=1 */
/* VectorWidthB=2 */
/* GlobalLoadVectorWidthA=1, GlobalLoadVectorWidthB=1 */
/* DirectToLdsA=False */
/* DirectToLdsB=False */
/* UseSgprForGRO=1 */
.amdgpu_metadata
---
amdhsa.version:
  - 1
  - 1
amdhsa.target: amdgcn-amd-amdhsa--gfx942
amdhsa.kernels:
  - .name: Cijk_Ailk_Bljk_SB_MT96x128x32_MI16x16x4x1_SN_1LDSB1_APM1_AF0EM1_AF1EM1_AMAS0_ASE_ASGT_ASLT097_ASM_ASAE01_ASCE01_ASEM1_BL1_BS1_CLR0_DTVA0_DTVB0_ETSP_EPS1_ELFLR0_EMLL0_FSSC10_FL0_GLVWA1_GLVWB1_GRCGA1_GRPM1_GRVWn1_GSU1_GSUASB_GLS0_IU1_K1_LBSPPA0_LBSPPB256_LPA16_LPB2_LRVW1_LWPMn1_MIAV0_MKFGSU256_NTA0_NTB0_NTC0_NTD0_NEPBS0_NLCA3_NLCB1_ONLL1_PGR1_PLR9_PKA0_SIA3_SLW1_SS0_SU32_SUM0_SUS256_SPO0_SRVW0_SSO0_SVW4_TSGRA0_TSGRB0_TT3_64_TLDS1_UMLDSA0_UMLDSB1_USFGROn1_VAW1_VSn1_VW1_VWB2_VFLRP0_WSGRA0_WSGRB0_WG32_8_1_WGM30
    .symbol: 'Cijk_Ailk_Bljk_SB_MT96x128x32_MI16x16x4x1_SN_1LDSB1_APM1_AF0EM1_AF1EM1_AMAS0_ASE_ASGT_ASLT097_ASM_ASAE01_ASCE01_ASEM1_BL1_BS1_CLR0_DTVA0_DTVB0_ETSP_EPS1_ELFLR0_EMLL0_FSSC10_FL0_GLVWA1_GLVWB1_GRCGA1_GRPM1_GRVWn1_GSU1_GSUASB_GLS0_IU1_K1_LBSPPA0_LBSPPB256_LPA16_LPB2_LRVW1_LWPMn1_MIAV0_MKFGSU256_NTA0_NTB0_NTC0_NTD0_NEPBS0_NLCA3_NLCB1_ONLL1_PGR1_PLR9_PKA0_SIA3_SLW1_SS0_SU32_SUM0_SUS256_SPO0_SRVW0_SSO0_SVW4_TSGRA0_TSGRB0_TT3_64_TLDS1_UMLDSA0_UMLDSB1_USFGROn1_VAW1_VSn1_VW1_VWB2_VFLRP0_WSGRA0_WSGRB0_WG32_8_1_WGM30.kd'
    .language:                   OpenCL C
    .language_version:
      - 2
      - 0
    .args:
      - .name:            Tensor2dSizeA
        .size:            8
        .offset:          0
        .value_kind:      by_value
        .value_type:      u64
      - .name:            Tensor2dSizeB
        .size:            8
        .offset:          8
        .value_kind:      by_value
        .value_type:      u64
      - .name:            AddressD
        .size:            8
        .offset:          16
        .value_kind:      by_value
        .value_type:      u64
      - .name:            AddressC
        .size:            8
        .offset:          24
        .value_kind:      by_value
        .value_type:      u64
      - .name:            AddressA
        .size:            8
        .offset:          32
        .value_kind:      by_value
        .value_type:      u64
      - .name:            AddressB
        .size:            8
        .offset:          40
        .value_kind:      by_value
        .value_type:      u64
      - .name:            Alpha
        .size:            4
        .offset:          48
        .value_kind:      by_value
        .value_type:      u32
      - .name:            Beta
        .size:            4
        .offset:          52
        .value_kind:      by_value
        .value_type:      u32
      - .name:            StridesD
        .size:            8
        .offset:          56
        .value_kind:      by_value
        .value_type:      u64
      - .name:            StridesC
        .size:            8
        .offset:          64
        .value_kind:      by_value
        .value_type:      u64
      - .name:            StridesA
        .size:            8
        .offset:          72
        .value_kind:      by_value
        .value_type:      u64
      - .name:            StridesB
        .size:            8
        .offset:          80
        .value_kind:      by_value
        .value_type:      u64
      - .name:            SizesFree
        .size:            12
        .offset:          88
        .value_kind:      by_value
        .value_type:      u96
      - .name:            SizesSum
        .size:            4
        .offset:          100
        .value_kind:      by_value
        .value_type:      u32
      - .name:            OrigStaggerUIter
        .size:            4
        .offset:          104
        .value_kind:      by_value
        .value_type:      u32
      - .name:            NumWorkGroups0
        .size:            4
        .offset:          108
        .value_kind:      by_value
        .value_type:      u32
      - .name:            NumWorkGroups1
        .size:            4
        .offset:          112
        .value_kind:      by_value
        .value_type:      u32
      - .name:            NumFullBlocks
        .size:            4
        .offset:          116
        .value_kind:      by_value
        .value_type:      u32
      - .name:            WgmRemainder1
        .size:            4
        .offset:          120
        .value_kind:      by_value
        .value_type:      u32
      - .name:            MagicNumberWgmRemainder1
        .size:            4
        .offset:          124
        .value_kind:      by_value
        .value_type:      u32
    .group_segment_fixed_size:   31232
    .kernarg_segment_align:      8
    .kernarg_segment_size:       128
    .max_flat_workgroup_size:    256
    .private_segment_fixed_size: 0
    .sgpr_count:                 89
    .sgpr_spill_count:           0
    .vgpr_count:                 208
    .vgpr_spill_count:           0
    .wavefront_size:             64
...
.end_amdgpu_metadata
Cijk_Ailk_Bljk_SB_MT96x128x32_MI16x16x4x1_SN_1LDSB1_APM1_AF0EM1_AF1EM1_AMAS0_ASE_ASGT_ASLT097_ASM_ASAE01_ASCE01_ASEM1_BL1_BS1_CLR0_DTVA0_DTVB0_ETSP_EPS1_ELFLR0_EMLL0_FSSC10_FL0_GLVWA1_GLVWB1_GRCGA1_GRPM1_GRVWn1_GSU1_GSUASB_GLS0_IU1_K1_LBSPPA0_LBSPPB256_LPA16_LPB2_LRVW1_LWPMn1_MIAV0_MKFGSU256_NTA0_NTB0_NTC0_NTD0_NEPBS0_NLCA3_NLCB1_ONLL1_PGR1_PLR9_PKA0_SIA3_SLW1_SS0_SU32_SUM0_SUS256_SPO0_SRVW0_SSO0_SVW4_TSGRA0_TSGRB0_TT3_64_TLDS1_UMLDSA0_UMLDSB1_USFGROn1_VAW1_VSn1_VW1_VWB2_VFLRP0_WSGRA0_WSGRB0_WG32_8_1_WGM30:

/******************************************/
/* Asm syntax workarounds                 */
/******************************************/
.macro _v_add_co_u32 dst:req, cc:req, src0:req, src1:req, dpp=
   v_add_co_u32 \dst, \cc, \src0, \src1 \dpp
.endm

.macro _v_add_u32 dst:req, src0:req, src1:req, dpp=
   v_add_u32 \dst, \src0, \src1 \dpp
.endm

.macro _v_add_i32 dst:req, src0:req, src1:req, dpp=
   v_add_i32 \dst, \src0, \src1 \dpp
.endm

.macro _v_addc_co_u32 dst:req, ccOut:req, src0:req, ccIn:req, src1:req, dpp=
   v_addc_co_u32 \dst, \ccOut, \src0, \ccIn, \src1 \dpp
.endm

.macro _v_sub_co_u32 dst:req, cc:req, src0:req, src1:req, dpp=
   v_sub_co_u32 \dst, \cc, \src0, \src1 \dpp
.endm

.macro _v_sub_u32 dst:req, src0:req, src1:req, dpp=
   v_sub_u32 \dst, \src0, \src1 \dpp
.endm

.macro _v_sub_i32 dst:req, src0:req, src1:req, dpp=
   v_sub_i32 \dst, \src0, \src1 \dpp
.endm

.macro _v_add_lshl_u32 dst:req, src0:req, src1:req, shiftCnt:req
    v_add_lshl_u32 \dst, \src0, \src1, \shiftCnt
.endm

.macro _v_lshl_add_u32 dst:req, src0:req, src1:req, shiftCnt:req
    v_lshl_add_u32 \dst, \src0, \src1, \shiftCnt
.endm

.macro _v_lshl_or_b32 dst:req, src0:req, shiftCnt:req, src1:req
    v_lshl_or_b32 \dst, \src0, \shiftCnt, \src1
.endm

.macro _v_dot2acc_f32_f16 dst, src0, src1
v_dot2c_f32_f16 \dst, \src0, \src1
.endm

.macro _v_cmpx_lt_i16 dst, src0, src1=
   v_cmpx_lt_i16 \dst, \src0, \src1 
.endm

.macro _v_cmpx_lt_i32 dst, src0, src1=
   v_cmpx_lt_i32 \dst, \src0, \src1 
.endm

.macro _v_cmpx_lt_i64 dst, src0, src1=
   v_cmpx_lt_i64 \dst, \src0, \src1 
.endm

.macro _v_cmpx_lt_u16 dst, src0, src1=
   v_cmpx_lt_u16 \dst, \src0, \src1 
.endm

.macro _v_cmpx_lt_u32 dst, src0, src1=
   v_cmpx_lt_u32 \dst, \src0, \src1 
.endm

.macro _v_cmpx_lt_u64 dst, src0, src1=
   v_cmpx_lt_u64 \dst, \src0, \src1 
.endm

.macro _v_cmpx_eq_i16 dst, src0, src1=
   v_cmpx_eq_i16 \dst, \src0, \src1 
.endm

.macro _v_cmpx_eq_i32 dst, src0, src1=
   v_cmpx_eq_i32 \dst, \src0, \src1 
.endm

.macro _v_cmpx_eq_i64 dst, src0, src1=
   v_cmpx_eq_i64 \dst, \src0, \src1 
.endm

.macro _v_cmpx_eq_u16 dst, src0, src1=
   v_cmpx_eq_u16 \dst, \src0, \src1 
.endm

.macro _v_cmpx_eq_u32 dst, src0, src1=
   v_cmpx_eq_u32 \dst, \src0, \src1 
.endm

.macro _v_cmpx_eq_u64 dst, src0, src1=
   v_cmpx_eq_u64 \dst, \src0, \src1 
.endm

.macro _v_cmpx_le_i16 dst, src0, src1=
   v_cmpx_le_i16 \dst, \src0, \src1 
.endm

.macro _v_cmpx_le_i32 dst, src0, src1=
   v_cmpx_le_i32 \dst, \src0, \src1 
.endm

.macro _v_cmpx_le_i64 dst, src0, src1=
   v_cmpx_le_i64 \dst, \src0, \src1 
.endm

.macro _v_cmpx_le_u16 dst, src0, src1=
   v_cmpx_le_u16 \dst, \src0, \src1 
.endm

.macro _v_cmpx_le_u32 dst, src0, src1=
   v_cmpx_le_u32 \dst, \src0, \src1 
.endm

.macro _v_cmpx_le_u64 dst, src0, src1=
   v_cmpx_le_u64 \dst, \src0, \src1 
.endm

.macro _v_cmpx_gt_i16 dst, src0, src1=
   v_cmpx_gt_i16 \dst, \src0, \src1 
.endm

.macro _v_cmpx_gt_i32 dst, src0, src1=
   v_cmpx_gt_i32 \dst, \src0, \src1 
.endm

.macro _v_cmpx_gt_i64 dst, src0, src1=
   v_cmpx_gt_i64 \dst, \src0, \src1 
.endm

.macro _v_cmpx_gt_u16 dst, src0, src1=
   v_cmpx_gt_u16 \dst, \src0, \src1 
.endm

.macro _v_cmpx_gt_u32 dst, src0, src1=
   v_cmpx_gt_u32 \dst, \src0, \src1 
.endm

.macro _v_cmpx_gt_u64 dst, src0, src1=
   v_cmpx_gt_u64 \dst, \src0, \src1 
.endm

.macro _v_cmpx_ne_i16 dst, src0, src1=
   v_cmpx_ne_i16 \dst, \src0, \src1 
.endm

.macro _v_cmpx_ne_i32 dst, src0, src1=
   v_cmpx_ne_i32 \dst, \src0, \src1 
.endm

.macro _v_cmpx_ne_i64 dst, src0, src1=
   v_cmpx_ne_i64 \dst, \src0, \src1 
.endm

.macro _v_cmpx_ne_u16 dst, src0, src1=
   v_cmpx_ne_u16 \dst, \src0, \src1 
.endm

.macro _v_cmpx_ne_u32 dst, src0, src1=
   v_cmpx_ne_u32 \dst, \src0, \src1 
.endm

.macro _v_cmpx_ne_u64 dst, src0, src1=
   v_cmpx_ne_u64 \dst, \src0, \src1 
.endm

.macro _v_cmpx_lg_i16 dst, src0, src1=
   v_cmpx_lg_i16 \dst, \src0, \src1 
.endm

.macro _v_cmpx_lg_i32 dst, src0, src1=
   v_cmpx_lg_i32 \dst, \src0, \src1 
.endm

.macro _v_cmpx_lg_i64 dst, src0, src1=
   v_cmpx_lg_i64 \dst, \src0, \src1 
.endm

.macro _v_cmpx_lg_u16 dst, src0, src1=
   v_cmpx_lg_u16 \dst, \src0, \src1 
.endm

.macro _v_cmpx_lg_u32 dst, src0, src1=
   v_cmpx_lg_u32 \dst, \src0, \src1 
.endm

.macro _v_cmpx_lg_u64 dst, src0, src1=
   v_cmpx_lg_u64 \dst, \src0, \src1 
.endm

.macro _v_cmpx_ge_i16 dst, src0, src1=
   v_cmpx_ge_i16 \dst, \src0, \src1 
.endm

.macro _v_cmpx_ge_i32 dst, src0, src1=
   v_cmpx_ge_i32 \dst, \src0, \src1 
.endm

.macro _v_cmpx_ge_i64 dst, src0, src1=
   v_cmpx_ge_i64 \dst, \src0, \src1 
.endm

.macro _v_cmpx_ge_u16 dst, src0, src1=
   v_cmpx_ge_u16 \dst, \src0, \src1 
.endm

.macro _v_cmpx_ge_u32 dst, src0, src1=
   v_cmpx_ge_u32 \dst, \src0, \src1 
.endm

.macro _v_cmpx_ge_u64 dst, src0, src1=
   v_cmpx_ge_u64 \dst, \src0, \src1 
.endm

.macro _v_cmpx_o_i16 dst, src0, src1=
   v_cmpx_o_i16 \dst, \src0, \src1 
.endm

.macro _v_cmpx_o_i32 dst, src0, src1=
   v_cmpx_o_i32 \dst, \src0, \src1 
.endm

.macro _v_cmpx_o_i64 dst, src0, src1=
   v_cmpx_o_i64 \dst, \src0, \src1 
.endm

.macro _v_cmpx_o_u16 dst, src0, src1=
   v_cmpx_o_u16 \dst, \src0, \src1 
.endm

.macro _v_cmpx_o_u32 dst, src0, src1=
   v_cmpx_o_u32 \dst, \src0, \src1 
.endm

.macro _v_cmpx_o_u64 dst, src0, src1=
   v_cmpx_o_u64 \dst, \src0, \src1 
.endm

.macro _v_cmpx_u_i16 dst, src0, src1=
   v_cmpx_u_i16 \dst, \src0, \src1 
.endm

.macro _v_cmpx_u_i32 dst, src0, src1=
   v_cmpx_u_i32 \dst, \src0, \src1 
.endm

.macro _v_cmpx_u_i64 dst, src0, src1=
   v_cmpx_u_i64 \dst, \src0, \src1 
.endm

.macro _v_cmpx_u_u16 dst, src0, src1=
   v_cmpx_u_u16 \dst, \src0, \src1 
.endm

.macro _v_cmpx_u_u32 dst, src0, src1=
   v_cmpx_u_u32 \dst, \src0, \src1 
.endm

.macro _v_cmpx_u_u64 dst, src0, src1=
   v_cmpx_u_u64 \dst, \src0, \src1 
.endm
.macro _v_mac_f32 c:req, a:req, b:req
    v_fmac_f32 \c, \a, \b
.endmacro

/* scale global load macros */
.macro _s_load_b32 dst base offset
    s_load_dword \dst \base \offset
.endm

.macro _s_load_b64 dst base offset
    s_load_dwordx2 \dst \base \offset
.endm

.macro _s_load_b128 dst base offset
    s_load_dwordx4 \dst \base \offset
.endm

.macro _s_load_b256 dst base offset
    s_load_dwordx8 \dst \base \offset
.endm

.macro _s_load_b512 dst base offset
    s_load_dwordx16 \dst \base \offset
.endm


/* ds operation macros */
.macro _ds_load_u8 dst src offset
    ds_read_u8 \dst \src \offset
.endm

.macro _ds_load_u8_d16_hi dst src offset
    ds_read_u8_d16_hi \dst \src \offset
.endm

.macro _ds_load_u16 dst src offset
    ds_read_u16 \dst \src \offset
.endm

.macro _ds_load_u16_d16_hi dst src offset
    ds_read_u16_d16_hi \dst \src \offset
.endm

.macro _ds_load_b32 dst src offset
    ds_read_b32 \dst \src \offset
.endm

.macro _ds_load_b64 dst src offset
    ds_read_b64 \dst \src \offset
.endm

.macro _ds_load_b128 dst src offset
    ds_read_b128 \dst \src \offset
.endm

.macro _ds_store_b8 dst src offset
    ds_write_b8 \dst \src \offset
.endm

.macro _ds_store_b8_d16_hi dst src offset
    ds_write_b8_d16_hi \dst \src \offset
.endm

.macro _ds_store_b16 dst src offset
    ds_write_b16 \dst \src \offset
.endm

.macro _ds_store_b16_d16_hi dst src offset
    ds_write_b16_d16_hi \dst \src \offset
.endm

.macro _ds_store_b32 dst src offset
    ds_write_b32 \dst \src \offset
.endm

.macro _ds_store_b64 dst src offset
    ds_write_b64 \dst \src \offset
.endm

.macro _ds_store_b128 dst src offset
    ds_write_b128 \dst \src \offset
.endm

.macro _ds_load2_b32 dst src offset1 offset2
    ds_read2_b32 \dst \src \offset1 \offset2
.endm

.macro _ds_load2_b64 dst src offset1 offset2
    ds_read2_b64 \dst \src \offset1 \offset2
.endm

.macro _ds_store2_b32 dst src offset1 offset2
    ds_write2_b32 \dst \src \offset1 \offset2
.endm

.macro _ds_store2_b64 dst src offset1 offset2
    ds_write2_b64 \dst \src \offset1 \offset2
.endm


/* buffer memory operation macros */
.macro _buffer_load_b32 dst voffset base soffset offen ioffset md0 md1 md2
    buffer_load_dword \dst \voffset \base \soffset \offen \ioffset \md0 \md1 \md2
.endm

.macro _buffer_load_b64 dst voffset base soffset offen ioffset md0 md1 md2
    buffer_load_dwordx2 \dst \voffset \base \soffset \offen \ioffset \md0 \md1 \md2
.endm

.macro _buffer_load_b96 dst voffset base soffset offen ioffset md0 md1 md2
    buffer_load_dwordx3 \dst \voffset \base \soffset \offen \ioffset \md0 \md1 \md2
.endm

.macro _buffer_load_b128 dst voffset base soffset offen ioffset md0 md1 md2
    buffer_load_dwordx4 \dst \voffset \base \soffset \offen \ioffset \md0 \md1 \md2
.endm

.macro _buffer_load_d16_b16 dst voffset base soffset offen ioffset md0 md1 md2
    buffer_load_short_d16 \dst \voffset \base \soffset \offen \ioffset \md0 \md1 \md2
.endm

.macro _buffer_load_d16_hi_b16 dst voffset base soffset offen ioffset md0 md1 md2
    buffer_load_short_d16_hi \dst \voffset \base \soffset \offen \ioffset \md0 \md1 \md2
.endm

.macro _buffer_load_d16_u8 dst voffset base soffset offen ioffset md0 md1 md2
    buffer_load_ubyte_d16 \dst \voffset \base \soffset \offen \ioffset \md0 \md1 \md2
.endm

.macro _buffer_load_d16_hi_u8 dst voffset base soffset offen ioffset md0 md1 md2
    buffer_load_ubyte_d16_hi \dst \voffset \base \soffset \offen \ioffset \md0 \md1 \md2
.endm

.macro _buffer_load_u16 dst voffset base soffset offen ioffset md0 md1 md2
    buffer_load_ushort \dst \voffset \base \soffset \offen \ioffset \md0 \md1 \md2
.endm

.macro _buffer_load_b32_dtl voffset base soffset offen ioffset md0 md1 md2
    buffer_load_dword \voffset \base \soffset \offen \ioffset \md0 \md1 \md2
.endm

.macro _buffer_load_b64_dtl voffset base soffset offen ioffset md0 md1 md2
    buffer_load_dwordx2 \voffset \base \soffset \offen \ioffset \md0 \md1 \md2
.endm

.macro _buffer_load_b128_dtl voffset base soffset offen ioffset md0 md1 md2
    buffer_load_dwordx4 \voffset \base \soffset \offen \ioffset \md0 \md1 \md2
.endm

.macro _buffer_load_u16_dtl voffset base soffset offen ioffset md0 md1 md2
    buffer_load_ushort \voffset \base \soffset \offen \ioffset \md0 \md1 \md2
.endm

.macro _buffer_store_b32 src voffset base soffset offen ioffset md0 md1 md2
    buffer_store_dword \src \voffset \base \soffset \offen \ioffset \md0 \md1 \md2
.endm

.macro _buffer_store_b64 src voffset base soffset offen ioffset md0 md1 md2
    buffer_store_dwordx2 \src \voffset \base \soffset \offen \ioffset \md0 \md1 \md2
.endm

.macro _buffer_store_b96 src voffset base soffset offen ioffset md0 md1 md2
    buffer_store_dwordx3 \src \voffset \base \soffset \offen \ioffset \md0 \md1 \md2
.endm

.macro _buffer_store_b128 src voffset base soffset offen ioffset md0 md1 md2
    buffer_store_dwordx4 \src \voffset \base \soffset \offen \ioffset \md0 \md1 \md2
.endm

.macro _buffer_store_b16 src voffset base soffset offen ioffset md0 md1 md2
    buffer_store_short \src \voffset \base \soffset \offen \ioffset \md0 \md1 \md2
.endm

.macro _buffer_store_d16_hi_b16 src voffset base soffset offen ioffset md0 md1 md2
    buffer_store_short_d16_hi \src \voffset \base \soffset \offen \ioffset \md0 \md1 \md2
.endm

.macro _buffer_store_b8 src voffset base soffset offen ioffset md0 md1 md2
    buffer_store_byte \src \voffset \base \soffset \offen \ioffset \md0 \md1 \md2
.endm

.macro _buffer_store_d16_hi_b8 src voffset base soffset offen ioffset md0 md1 md2
    buffer_store_byte_d16_hi \src \voffset \base \soffset \offen \ioffset \md0 \md1 \md2
.endm

.macro _buffer_atomic_cmpswap_b32 dst voffset base soffset offen ioffset md0 md1 md2
    buffer_atomic_cmpswap \dst \voffset \base \soffset \offen \ioffset \md0 \md1 \md2
.endm

.macro _buffer_atomic_cmpswap_b64 dst voffset base soffset offen ioffset md0 md1 md2
    buffer_atomic_cmpswap_x2 \dst \voffset \base \soffset \offen \ioffset \md0 \md1 \md2
.endm


/* buffer memory operation macros */
.macro _global_load_b32 dst base src ioffset md0 md1 md2
    global_load_dword \dst \base \src \ioffset \md0 \md1 \md2
.endm

.macro _global_load_b64 dst base src ioffset md0 md1 md2
    global_load_dwordx2 \dst \base \src \ioffset \md0 \md1 \md2
.endm

.macro _global_load_b96 dst base src ioffset md0 md1 md2
    global_load_dwordx3 \dst \base \src \ioffset \md0 \md1 \md2
.endm

.macro _global_load_b128 dst base src ioffset md0 md1 md2
    global_load_dwordx4 \dst \base \src \ioffset \md0 \md1 \md2
.endm

.macro _global_load_d16_b16 dst base src ioffset md0 md1 md2
    global_load_short_d16 \dst \base \src \ioffset \md0 \md1 \md2
.endm

.macro _global_load_d16_hi_b16 dst base src ioffset md0 md1 md2
    global_load_short_d16_hi \dst \base \src \ioffset \md0 \md1 \md2
.endm

.macro _global_load_d16_u8 dst base src ioffset md0 md1 md2
    global_load_ubyte_d16 \dst \base \src \ioffset \md0 \md1 \md2
.endm

.macro _global_load_d16_hi_u8 dst base src ioffset md0 md1 md2
    global_load_ubyte_d16_hi \dst \base \src \ioffset \md0 \md1 \md2
.endm

.macro _global_load_u16 dst base src ioffset md0 md1 md2
    global_load_ushort \dst \base \src \ioffset \md0 \md1 \md2
.endm

.macro _global_store_b32 base src src2 md0 md1 md2
    global_store_dword \base \src \src2 \md0 \md1 \md2
.endm

.macro _global_store_b64 base src src2 md0 md1 md2
    global_store_dwordx2 \base \src \src2 \md0 \md1 \md2
.endm

.macro _global_store_b96 base src src2 md0 md1 md2
    global_store_dwordx3 \base \src \src2 \md0 \md1 \md2
.endm

.macro _global_store_b128 base src src2 md0 md1 md2
    global_store_dwordx4 \base \src \src2 \md0 \md1 \md2
.endm

.macro _global_store_d16_b16 base src src2 md0 md1 md2
    global_store_short \base \src \src2 \md0 \md1 \md2
.endm

.macro _global_store_d16_hi_b16 base src src2 md0 md1 md2
    global_store_short_d16_hi \base \src \src2 \md0 \md1 \md2
.endm

.macro _global_store_d16_u8 base src src2 md0 md1 md2
    global_store_ubyte_d16 \base \src \src2 \md0 \md1 \md2
.endm

.macro _global_store_d16_hi_u8 base src src2 md0 md1 md2
    global_store_ubyte_d16_hi \base \src \src2 \md0 \md1 \md2
.endm

.macro _global_store_u16 base src src2 md0 md1 md2
    global_store_ushort \base \src \src2 \md0 \md1 \md2
.endm

.macro _global_atomic_cmpswap_b32 tmp base data src ioffset md
    global_atomic_cmpswap \tmp \base \data \src \ioffset \md
.endm

.macro _global_atomic_cmpswap_b64 tmp base data src ioffset md
    global_atomic_cmpswap_x2 \tmp \base \data \src \ioffset \md
.endm


/******************************************/
/* Magic div and mod functions            */
/******************************************/
.macro V_MAGIC_DIV dstIdx:req, dividend:req, magicNumber:req, magicShift:req, magicA:req
    v_mul_hi_u32 v[\dstIdx+1], \dividend, \magicNumber
    v_mul_lo_u32 v[\dstIdx+0], \dividend, \magicA
    _v_add_u32 v[\dstIdx+0], v[\dstIdx+0], v[\dstIdx+1]
    v_lshrrev_b32 v[\dstIdx+0], \magicShift, v[\dstIdx+0]
.endm

/******************************************/
/* VGPR Assignments                       */
/******************************************/
/* ValuC range: [0-0), serializedStore enabled */
.set vgprValuC, 0
/* ValuA/B   Xn=PLR buffer idx,  In=InnerUnroll idx */
.set vgprValuA_X0_I0, 0
.set vgprValuA_X1_I0, 3
.set vgprValuA_X2_I0, 6
.set vgprValuA_X3_I0, 9
.set vgprValuA_X4_I0, 12
.set vgprValuA_X5_I0, 15
.set vgprValuA_X6_I0, 18
.set vgprValuA_X7_I0, 21
.set vgprG2LA, 60
.set vgprValuB_X0_I0, 24
.set vgprValuB_X1_I0, 28
.set vgprValuB_X2_I0, 32
.set vgprValuB_X3_I0, 36
.set vgprValuB_X4_I0, 40
.set vgprValuB_X5_I0, 44
.set vgprValuB_X6_I0, 48
.set vgprValuB_X7_I0, 52
.set vgprG2LB, 72
.set vgprLocalWriteAddrA, 56
.set vgprLocalWriteAddrB, 57
.set vgprGlobalReadOffsetA, 58
.set vgprGlobalReadOffsetB, 59
.set vgprLocalReadAddrA, 88
.set vgprLocalReadAddrB, 89
.set vgprSerial, 90
/* Num VGPR=208 */
/* Num AccVGPR=48 */

/******************************************/
/* SGPR Assignments                       */
/******************************************/
.set sgprKernArgAddress, 0 // (2)
.set sgprWorkGroup0, 2 // (1)
.set sgprWorkGroup1, 3 // (1)
.set sgprWorkGroup2, 4 // (1)
.set sgprLoopCounterL, 5 // (1)
.set sgprOrigLoopCounter, 6 // (1)
.set sgprSrdA, 8 // (4)
.set sgprSrdB, 12 // (4)
.set sgprSrdD, 16 // (4)
.set sgprSrdC, 20 // (4)
.set sgprTensor2dSizeA, 24 // (2)
.set sgprTensor2dSizeB, 26 // (2)
.set sgprAddressD, 28 // (2)
.set sgprAddressC, 30 // (2)
.set sgprAddressA, 32 // (2)
.set sgprAddressB, 34 // (2)
.set sgprAlpha, 36 // (1)
.set sgprBeta, 37 // (1)
.set sgprStridesD, 38 // (2)
.set sgprStridesC, 40 // (2)
.set sgprStridesA, 42 // (2)
.set sgprStridesB, 44 // (2)
.set sgprSizesFree, 46 // (3)
.set sgprSizesSum, 49 // (1)
.set sgprOrigStaggerUIter, 50 // (1)
.set sgprNumWorkGroups0, 51 // (1)
.set sgprNumWorkGroups1, 52 // (1)
.set sgprNumFullBlocks, 53 // (1)
.set sgprWgmRemainder1, 54 // (1)
.set sgprMagicNumberWgmRemainder1, 55 // (1)
.set sgprShadowLimitA, 0 // (2)
.set sgprShadowLimitB, 28 // (2)
.set sgprStaggerUIter, 7 // (1)
.set sgprWrapUA, 30 // (2)
.set sgprWrapUB, 32 // (2)
.set sgprGlobalReadIncsA, 34 // (1)
.set sgprGlobalReadIncsB, 35 // (1)
.set sgprScalarGlobalReadOffsetA, 58 // (11)
.set sgprScalarGlobalReadOffsetB, 69 // (15)
/* max SGPR=89 */

/* Size Assignments */
.set sgprSizeI, sgprSizesFree+0
.set sgprSizeJ, sgprSizesFree+1
.set sgprSizeK, sgprSizesFree+2
.set sgprSizeL, sgprSizesSum+0

/* Stride Assignments */
.set constStrideD0I, 1
.set sgprStrideD1J, sgprStridesD+0
.set sgprStrideDK, sgprStridesD+1
.set constStrideC0I, 1
.set sgprStrideC1J, sgprStridesC+0
.set sgprStrideCK, sgprStridesC+1
.set constStrideA0I, 1
.set sgprStrideAL, sgprStridesA+0
.set sgprStrideAK, sgprStridesA+1
.set constStrideBL, 1
.set sgprStrideB1J, sgprStridesB+0
.set sgprStrideBK, sgprStridesB+1

.set MT0, 96
.set MT1, 128
.set DepthU, 32
.set GSU, 1
.set BpeA, 4
.set BpeALog2, 2
.set BpeB, 4
.set BpeBLog2, 2
/* Number of elements to shift-left SRD */
.set SrdShiftLeftA, 1
.set SrdShiftLeftB, 1
/* 2GB limit - set offsets to -1 to exceed this and clamp */
.set BufferLimitA, 0xffffffff
.set BufferLimitB, 0xffffffff
.set BufferOOB, 0xfffff000

/******************************************/
/* Bits 127:96 of SRD.                    */
/* hex: 0x00020000                        */
/* dst_sel_x (3b): 0                      */
/* dst_sel_y (3b): 0                      */
/* dst_sel_z (3b): 0                      */
/* dst_sel_w (3b): 0                      */
/* num_format (3b): 0                     */
/* data_format (4b): 4                    */
/* user_vm_enable (1b): 0                 */
/* user_vm_mode (1b): 0                   */
/* index_stride (2b): 0                   */
/* add_tid_enable (1b): 0                 */
/* _unusedA (3b): 0                       */
/* nv (1b): 0                             */
/* _unusedB (2b): 0                       */
/* type (2b): 0                           */
/******************************************/
.set Srd127_96, 0x00020000

/* Global Offset A */
.macro GLOBAL_OFFSET_A vgprAddr:req vgprOffset0I:req vgprOffsetL:req vgprTmp:req
v_mul_lo_u32 v[\vgprTmp+0], s[sgprStrideAL], v[\vgprOffsetL] // mul d1 lower
_v_add_co_u32 v[\vgprAddr+0], vcc, v[\vgprOffset0I], v[\vgprTmp+0] // accumulate K lower
_v_add_u32 v[\vgprAddr+0], 0x1, v[\vgprAddr+0]     // add prepad for pointer shift
v_lshlrev_b32 v[\vgprAddr+0], 0x2, v[\vgprAddr+0]  // offset *= bytes/element
.endm

/* Global Offset B */
.macro GLOBAL_OFFSET_B vgprAddr:req vgprOffsetL:req vgprOffset1J:req vgprTmp:req
v_mul_lo_u32 v[\vgprTmp+0], s[sgprStrideB1J], v[\vgprOffset1J] // mul d1 lower
_v_add_co_u32 v[\vgprAddr+0], vcc, v[\vgprOffsetL], v[\vgprTmp+0] // accumulate K lower
_v_add_u32 v[\vgprAddr+0], 0x1, v[\vgprAddr+0]     // add prepad for pointer shift
v_lshlrev_b32 v[\vgprAddr+0], 0x2, v[\vgprAddr+0]  // offset *= bytes/element
.endm

/******************************************/
/* Dynamic Scalar Divide: vQuotient=vDividend/vDivisor; vRemainder=vDividend%vDivisor; */
/******************************************/
.macro DYNAMIC_VECTOR_DIVIDE vQuotient vRemainder vDividend vDivisor vTmp0 vTmp1 sTmp
v_cvt_f32_u32 v[\vQuotient], v[\vDivisor]          // 
v_rcp_f32 v[\vQuotient], v[\vQuotient]             // 
v_mul_f32 v[\vQuotient], 0x4f800000, v[\vQuotient] // 
v_cvt_u32_f32 v[\vQuotient], v[\vQuotient]         // 
v_mul_lo_u32 v[\vRemainder], v[\vDivisor], v[\vQuotient] // 
v_mul_hi_u32 v[\vTmp0], v[\vDivisor], v[\vQuotient] // 
_v_sub_co_u32 v[\vTmp1], vcc, 0x0, v[\vRemainder]  // 
v_cmp_ne_i32 s[\sTmp:\sTmp+1], 0x0, v[\vTmp0]      // 
v_cndmask_b32 v[\vRemainder], v[\vTmp1], v[\vRemainder], s[\sTmp:\sTmp+1] // 
v_mul_hi_u32 v[\vRemainder], v[\vRemainder], v[\vQuotient] // 
_v_sub_co_u32 v[\vTmp0], vcc, v[\vQuotient], v[\vRemainder] // 
_v_add_co_u32 v[\vQuotient], vcc, v[\vQuotient], v[\vRemainder] // 
v_cndmask_b32 v[\vQuotient], v[\vQuotient], v[\vTmp0], s[\sTmp:\sTmp+1] // 
v_mul_hi_u32 v[\vQuotient], v[\vQuotient], v[\vDividend] // 
v_mul_lo_u32 v[\vRemainder], v[\vQuotient], v[\vDivisor] // 
_v_sub_co_u32 v[\vTmp0], vcc, v[\vDividend], v[\vRemainder] // 
v_cmp_ge_u32 s[\sTmp:\sTmp+1], v[\vDividend], v[\vRemainder] // 
_v_add_co_u32 v[\vRemainder], vcc, 0x1, v[\vQuotient] // 
_v_add_co_u32 v[\vTmp1], vcc, -1, v[\vQuotient]    // 
v_cmp_le_u32 vcc, v[\vDivisor], v[\vTmp0]          // 
s_and_b64 vcc, s[\sTmp:\sTmp+1], vcc               // 
v_cndmask_b32 v[\vQuotient], v[\vQuotient], v[\vRemainder], vcc // 
v_cndmask_b32 v[\vQuotient], v[\vTmp1], v[\vQuotient], s[\sTmp:\sTmp+1] // 
v_cmp_ne_i32 vcc, 0x0, v[\vDivisor]                // 
v_cndmask_b32 v[\vQuotient], -1, v[\vQuotient], vcc // final result
v_mul_lo_u32 v[\vRemainder], v[\vQuotient], v[\vDivisor] // 
_v_sub_co_u32 v[\vRemainder], vcc, v[\vDividend], v[\vRemainder] // final result
.endm


	;; [unrolled: 1-line block ×3, first 2 shown]
/******************************************/
/* Allocate Resources                     */
/******************************************/

Cijk_Ailk_Bljk_SB_MT96x128x32_MI16x16x4x1_SN_1LDSB1_APM1_AF0EM1_AF1EM1_AMAS0_ASE_ASGT_ASLT097_ASM_ASAE01_ASCE01_ASEM1_BL1_BS1_CLR0_DTVA0_DTVB0_ETSP_EPS1_ELFLR0_EMLL0_FSSC10_FL0_GLVWA1_GLVWB1_GRCGA1_GRPM1_GRVWn1_GSU1_GSUASB_GLS0_IU1_K1_LBSPPA0_LBSPPB256_LPA16_LPB2_LRVW1_LWPMn1_MIAV0_MKFGSU256_NTA0_NTB0_NTC0_NTD0_NEPBS0_NLCA3_NLCB1_ONLL1_PGR1_PLR9_PKA0_SIA3_SLW1_SS0_SU32_SUM0_SUS256_SPO0_SRVW0_SSO0_SVW4_TSGRA0_TSGRB0_TT3_64_TLDS1_UMLDSA0_UMLDSB1_USFGROn1_VAW1_VSn1_VW1_VWB2_VFLRP0_WSGRA0_WSGRB0_WG32_8_1_WGM30_preloaded: // Kernel start when preloading

/* Load Kernel Args */
_s_load_b512 s[24:39], s[sgprKernArgAddress:sgprKernArgAddress+1], 0x0 // 
_s_load_b512 s[40:55], s[sgprKernArgAddress:sgprKernArgAddress+1], 0x40 // 
s_mov_b32 m0, 0x7a00                               // LDS clamp at 31232 bytes
v_mov_b32 v[vgprSerial], v0                        // thread serial id

/******************************************/
/* Local Read Addresses                   */
/******************************************/


/* local read addresses: tile assignments a/b */

/*lr0I*/
v_and_b32 v1, 63, v[vgprSerial]                    // 0. thread id in wave: wtid = tid % wavelength(64)
v_and_b32 v0, 15, v1                               // 1. N offset: nIdx = wtid % MI_N(16)
                                                   // 1. N offset: nOffset = nIdx * nStride(1) (multiplier is 1, do nothing)
                                                   // 2. block offset: bnIdx = bnIdx % num1DBlocks(1) is 0. do nothing
                                                   // 4. apply VectorWidth: bnOffset = bnOffset * vw(1) (multiplier is 1, do nothing)
v_lshrrev_b32 v1, 4, v1                            // 5. K offset: kIdx = wtid / (MIN(16) * MIBB(1))
s_mov_b32 s7, 0x70                                 // 5. K offset: lrKOffset = kIdx * mStride(112)
v_mul_lo_u32 v1, s7, v1                            // 5. K offset: lrKOffset = kIdx * mStride(112)
_v_add_u32 v0, v1, v0                              // 6. offset in wave: lrOffset = bnOffset + lrKOffset
v_lshrrev_b32 v2, 6, v[vgprSerial]                 // 7. wave offset in N dimen: wtid = tid / dividedForWaveId(64)
v_and_b32 v1, 1, v2                                // 7. wave offset in M dimen: wtid0 = wtid / num1DWaves(2)
v_lshlrev_b32 v1, 0x4, v1                          // 7. wave offset in M dimen: wOffset = wtid0 * W0Stride(16)
_v_add_u32 v0, v1, v0                              // 8. final local read offset: flrOffset = lrOffset + WOffset
/*lr1J*/
v_and_b32 v2, 63, v[vgprSerial]                    // 0. thread id in wave: wtid = tid % wavelength(64)
v_and_b32 v1, 15, v2                               // 1. N offset: nIdx = wtid % MI_N(16)
v_lshlrev_b32 v1, 0x5, v1                          // 1. N offset: nOffset = nIdx * nStride(32)
                                                   // 2. block offset: bnIdx = bnIdx % num1DBlocks(1) is 0. do nothing
v_lshlrev_b32 v1, 0x1, v1                          // 4. apply VectorWidth: bnOffset = bnOffset * vw(2)
v_lshrrev_b32 v2, 4, v2                            // 5. K offset: kIdx = wtid / (MIN(16) * MIBB(1))
                                                   // 5. K offset: lrKOffset = kIdx * mStride(1) (multiplier is 1, do nothing)
_v_add_u32 v1, v2, v1                              // 6. offset in wave: lrOffset = bnOffset + lrKOffset
v_lshrrev_b32 v3, 7, v[vgprSerial]                 // 7. wave offset in N dimen: wtid = tid / dividedForWaveId(128)
v_and_b32 v2, 1, v3                                // 7. wave offset in M dimen: wtid0 = wtid / num1DWaves(2)
v_lshlrev_b32 v2, 0xa, v2                          // 7. wave offset in M dimen: wOffset = wtid0 * W0Stride(1024)
_v_add_u32 v1, v2, v1                              // 8. final local read offset: flrOffset = lrOffset + WOffset


/* local read addresses: final offsets a */

v_lshlrev_b32 v[vgprLocalReadAddrA], 0x2, v0       // Final Offset: offset = (lro0)*bpe


/* local read addresses: final offsets b */

v_lshlrev_b32 v[vgprLocalReadAddrB], 0x2, v1       // Final Offset: offset = (lro1)*bpe
v_lshrrev_b32 v0, 8, v[vgprLocalReadAddrB]         // Final Offset: padding 2 per block 256
v_lshlrev_b32 v0, 0x3, v0                          // Final Offset: padding 2 per block 256
_v_add_u32 v[vgprLocalReadAddrB], v0, v[vgprLocalReadAddrB] // Final Offset: add padding 2 per block 256


/* local read addresses: declare addresses a */

/* N/A */


/* local read addresses: declare addresses b */

_v_add_co_u32 v[vgprLocalReadAddrB+0], vcc, 0x3800, v[vgprLocalReadAddrB+0] //  += LdsOffsetB (lower)


/* global read addresses: tile offset assignment a */

/* LVCA = 32 */
/* v0 = (local)groA-tile = serial%LVCA (note (wgA*MTA) will be added to SRD) */
/* v1 = groA-unroll = serial/LVCA */
v_lshrrev_b32 v1, 5, v[vgprSerial]                 // v1 = v[vgprSerial] / 32
v_and_b32 v0, 31, v[vgprSerial]                    // v0 = v[vgprSerial] % 32
/* gro-tile *= glvw */
                                                   // v0 = v0 * 1 (multiplier is 1, do nothing)


/* global read addresses: tile offset assignment b */

/* LVCB = 32 */
/* v2 = (local)groB-tile = serial/LVCB (note (wgB*MTB) will be added to SRD) */
/* v3 = groB-unroll = serial%LVCB */
v_lshrrev_b32 v2, 5, v[vgprSerial]                 // v2 = v[vgprSerial] / 32
v_and_b32 v3, 31, v[vgprSerial]                    // v3 = v[vgprSerial] % 32
/* gro-unroll *= glvw */
                                                   // v3 = v3 * 1 (multiplier is 1, do nothing)


/******************************************/
/* Local Write Addresses                  */
/******************************************/

/* lwaTileAssignmentA = v0 */

/* lwaTileAssignmentB = v2 */

/* lwaUnrollAssignmentA = v1 */

/* lwaUnrollAssignmentB = v3 */


/* local write addresses: first offset a */

v_mul_u32_u24 v[vgprLocalWriteAddrA], 0x70, v1     // lwAL**(MTA + PAD)
_v_add_lshl_u32 v[vgprLocalWriteAddrA], v0, v[vgprLocalWriteAddrA], 0x2 // lwFOA = (lwAA + lwAL*(MT0I+PAD))*bpe


/* local write addresses: first offset b */

v_mul_u32_u24 v[vgprLocalWriteAddrB], 0x20, v2     // lwBL**(DepthU_Compute + PAD)
_v_add_lshl_u32 v[vgprLocalWriteAddrB], v3, v[vgprLocalWriteAddrB], 0x2 // lwFOB = (lwBB + lwBL*(DepthU+PAD))*bpe
v_lshrrev_b32 v4, 8, v[vgprLocalWriteAddrB]        // padding 2 per block 256
v_lshlrev_b32 v4, 0x3, v4                          // padding 2 per block 256
_v_add_u32 v[vgprLocalWriteAddrB], v4, v[vgprLocalWriteAddrB] // add padding 2 per block 256
_v_add_co_u32 v[vgprLocalWriteAddrB], vcc, 0x3800, v[vgprLocalWriteAddrB] // lwFOB = lwB1J + lwBL*MT1J + LDS_OFFSET_B=3584*4


	;; [unrolled: 1-line block ×7, first 2 shown]
s_waitcnt lgkmcnt(0)                               // wait for 128 bytes of kern args
s_mov_b64 s[sgprSrdC+0:sgprSrdC+0+1], s[sgprAddressC+0:sgprAddressC+0+1] // copy addressC
s_mov_b64 s[sgprSrdD+0:sgprSrdD+0+1], s[sgprAddressD+0:sgprAddressD+0+1] // copy addressD
s_sub_u32 s[sgprSrdA+0], s[sgprAddressA+0], 4      // pre-pad to make room for possible pointer shift
s_subb_u32 s[sgprSrdA+1], s[sgprAddressA+1], 0     // pre-pad to make room for possible pointer shift
s_sub_u32 s[sgprSrdB+0], s[sgprAddressB+0], 4      // pre-pad to make room for possible pointer shift
s_subb_u32 s[sgprSrdB+1], s[sgprAddressB+1], 0     // pre-pad to make room for possible pointer shift

.set AddressD, UNDEF
.set AddressC, UNDEF
.set AddressA, UNDEF
.set AddressB, UNDEF

/* Short circuit condition if Alpha == 0, then sumDims=0 */
v_cmp_eq_f32 vcc, s[sgprAlpha], 0.0                // Alpha == 0.0f ?
s_cbranch_vccz label_AlphaNonZero                  // branch if alpha != 0
s_mov_b32 s[sgprSizesSum+0], 0x0                   // Set summation dim=0 if Alpha == 0
label_AlphaNonZero:



/******************************************/
/* Begin setupNewTile, isPap=False           */
/******************************************/


/* global read addresses: work-group */

/* graWorkGroup mapping */
s_mov_b32 s87, 0x4444445L                          // magic number for WGM==30
s_mul_hi_u32 s85, s[sgprWorkGroup1], s87           // s_magic mul
s_mul_i32 s84, s[sgprWorkGroup1], s87              // s_magic mul
s_lshr_b64 s[84:85], s[84:85], 31                  // sMagicDiv
s_mul_i32 s85, s84, 30                             // quotient * non-magic divisor
s_sub_u32 s85, s[sgprWorkGroup1], s85              // WorkGroup1=remainder
s_mul_i32 s85, s85, s[sgprNumWorkGroups0]          // (wg1 % WGM)*nwg0
s_add_u32 s85, s85, s[sgprWorkGroup0]              // wgSerial = wg0 + (wg1 % WGM)*nwg1
s_cmp_ge_u32 s84, s[sgprNumFullBlocks]             // blockId >= numFullBlocks ?
s_cmov_b32 s87, s[sgprMagicNumberWgmRemainder1]    // 
s_cselect_b32 s86, s[sgprWgmRemainder1], 30        // 
s_mul_hi_u32 s3, s85, s87                          // s_magic mul
s_mul_i32 s2, s85, s87                             // s_magic mul
s_lshr_b64 s[2:3], s[2:3], 31                      // sMagicDiv
s_mul_i32 s[sgprWorkGroup1], s[sgprWorkGroup0], s86 // quotient * non-magic divisor
s_sub_u32 s[sgprWorkGroup1], s85, s[sgprWorkGroup1] // WorkGroup1=remainder
s_mul_i32 s84, s84, 30                             // blockId * WGM
s_add_u32 s[sgprWorkGroup1], s[sgprWorkGroup1], s84 // wg1 += blockId * WGM


/* global read addresses: unroll assignment a */

/* v1 */


/* global read addresses: unroll assignment b */

/* v3 */


/* global read addresses: other free assignments */

/* s[sgprWorkGroup2] */


/* global read addresses: tile offsets a */


	;; [unrolled: 1-line block ×3, first 2 shown]
/* global read addresses: tile offsets b */


	;; [unrolled: 1-line block ×3, first 2 shown]
/* global read addresses: unroll offsets a */


	;; [unrolled: 1-line block ×3, first 2 shown]
/* global read addresses: unroll offsets b */


	;; [unrolled: 1-line block ×3, first 2 shown]
/* global read addresses: final offsets a */

GLOBAL_OFFSET_A vgprGlobalReadOffsetA+0,  0,  1, 4 // gROA_0_0_0_0
s_mul_i32 s[sgprScalarGlobalReadOffsetA+0], s[sgprStrideAL], 0 // compute offset diff (scaled unrollDim)
s_add_u32 s[sgprScalarGlobalReadOffsetA+0], s[sgprScalarGlobalReadOffsetA+0], 32 // compute offset diff (tileDim)
s_lshl_b32 s[sgprScalarGlobalReadOffsetA+0], s[sgprScalarGlobalReadOffsetA+0], 0x2 // scalar offset *= bytes/element
s_mul_i32 s[sgprScalarGlobalReadOffsetA+1], s[sgprStrideAL], 0 // compute offset diff (scaled unrollDim)
s_add_u32 s[sgprScalarGlobalReadOffsetA+1], s[sgprScalarGlobalReadOffsetA+1], 64 // compute offset diff (tileDim)
s_lshl_b32 s[sgprScalarGlobalReadOffsetA+1], s[sgprScalarGlobalReadOffsetA+1], 0x2 // scalar offset *= bytes/element
s_mul_i32 s[sgprScalarGlobalReadOffsetA+2], s[sgprStrideAL], 8 // compute offset diff (scaled unrollDim)
s_lshl_b32 s[sgprScalarGlobalReadOffsetA+2], s[sgprScalarGlobalReadOffsetA+2], 0x2 // scalar offset *= bytes/element
s_mul_i32 s[sgprScalarGlobalReadOffsetA+3], s[sgprStrideAL], 8 // compute offset diff (scaled unrollDim)
s_add_u32 s[sgprScalarGlobalReadOffsetA+3], s[sgprScalarGlobalReadOffsetA+3], 32 // compute offset diff (tileDim)
s_lshl_b32 s[sgprScalarGlobalReadOffsetA+3], s[sgprScalarGlobalReadOffsetA+3], 0x2 // scalar offset *= bytes/element
s_mul_i32 s[sgprScalarGlobalReadOffsetA+4], s[sgprStrideAL], 8 // compute offset diff (scaled unrollDim)
s_add_u32 s[sgprScalarGlobalReadOffsetA+4], s[sgprScalarGlobalReadOffsetA+4], 64 // compute offset diff (tileDim)
s_lshl_b32 s[sgprScalarGlobalReadOffsetA+4], s[sgprScalarGlobalReadOffsetA+4], 0x2 // scalar offset *= bytes/element
s_mul_i32 s[sgprScalarGlobalReadOffsetA+5], s[sgprStrideAL], 16 // compute offset diff (scaled unrollDim)
s_lshl_b32 s[sgprScalarGlobalReadOffsetA+5], s[sgprScalarGlobalReadOffsetA+5], 0x2 // scalar offset *= bytes/element
	;; [unrolled: 8-line block ×3, first 2 shown]
s_mul_i32 s[sgprScalarGlobalReadOffsetA+9], s[sgprStrideAL], 24 // compute offset diff (scaled unrollDim)
s_add_u32 s[sgprScalarGlobalReadOffsetA+9], s[sgprScalarGlobalReadOffsetA+9], 32 // compute offset diff (tileDim)
s_lshl_b32 s[sgprScalarGlobalReadOffsetA+9], s[sgprScalarGlobalReadOffsetA+9], 0x2 // scalar offset *= bytes/element
s_mul_i32 s[sgprScalarGlobalReadOffsetA+10], s[sgprStrideAL], 24 // compute offset diff (scaled unrollDim)
s_add_u32 s[sgprScalarGlobalReadOffsetA+10], s[sgprScalarGlobalReadOffsetA+10], 64 // compute offset diff (tileDim)
s_lshl_b32 s[sgprScalarGlobalReadOffsetA+10], s[sgprScalarGlobalReadOffsetA+10], 0x2 // scalar offset *= bytes/element


/* global read addresses: final offsets b */

GLOBAL_OFFSET_B vgprGlobalReadOffsetB+0,  3,  2, 4 // gROB_0_0_0_0
s_mul_i32 s[sgprScalarGlobalReadOffsetB+0], s[sgprStrideB1J], 8 // compute offset diff (scaled tileDim)
s_lshl_b32 s[sgprScalarGlobalReadOffsetB+0], s[sgprScalarGlobalReadOffsetB+0], 0x2 // scalar offset *= bytes/element
s_mul_i32 s[sgprScalarGlobalReadOffsetB+1], s[sgprStrideB1J], 16 // compute offset diff (scaled tileDim)
s_lshl_b32 s[sgprScalarGlobalReadOffsetB+1], s[sgprScalarGlobalReadOffsetB+1], 0x2 // scalar offset *= bytes/element
s_mul_i32 s[sgprScalarGlobalReadOffsetB+2], s[sgprStrideB1J], 24 // compute offset diff (scaled tileDim)
s_lshl_b32 s[sgprScalarGlobalReadOffsetB+2], s[sgprScalarGlobalReadOffsetB+2], 0x2 // scalar offset *= bytes/element
s_mul_i32 s[sgprScalarGlobalReadOffsetB+3], s[sgprStrideB1J], 32 // compute offset diff (scaled tileDim)
s_lshl_b32 s[sgprScalarGlobalReadOffsetB+3], s[sgprScalarGlobalReadOffsetB+3], 0x2 // scalar offset *= bytes/element
s_mul_i32 s[sgprScalarGlobalReadOffsetB+4], s[sgprStrideB1J], 40 // compute offset diff (scaled tileDim)
s_lshl_b32 s[sgprScalarGlobalReadOffsetB+4], s[sgprScalarGlobalReadOffsetB+4], 0x2 // scalar offset *= bytes/element
s_mul_i32 s[sgprScalarGlobalReadOffsetB+5], s[sgprStrideB1J], 48 // compute offset diff (scaled tileDim)
s_lshl_b32 s[sgprScalarGlobalReadOffsetB+5], s[sgprScalarGlobalReadOffsetB+5], 0x2 // scalar offset *= bytes/element
s_mul_i32 s[sgprScalarGlobalReadOffsetB+6], s[sgprStrideB1J], 56 // compute offset diff (scaled tileDim)
s_lshl_b32 s[sgprScalarGlobalReadOffsetB+6], s[sgprScalarGlobalReadOffsetB+6], 0x2 // scalar offset *= bytes/element
s_mul_i32 s[sgprScalarGlobalReadOffsetB+7], s[sgprStrideB1J], 64 // compute offset diff (scaled tileDim)
s_lshl_b32 s[sgprScalarGlobalReadOffsetB+7], s[sgprScalarGlobalReadOffsetB+7], 0x2 // scalar offset *= bytes/element
s_mul_i32 s[sgprScalarGlobalReadOffsetB+8], s[sgprStrideB1J], 72 // compute offset diff (scaled tileDim)
s_lshl_b32 s[sgprScalarGlobalReadOffsetB+8], s[sgprScalarGlobalReadOffsetB+8], 0x2 // scalar offset *= bytes/element
s_mul_i32 s[sgprScalarGlobalReadOffsetB+9], s[sgprStrideB1J], 80 // compute offset diff (scaled tileDim)
s_lshl_b32 s[sgprScalarGlobalReadOffsetB+9], s[sgprScalarGlobalReadOffsetB+9], 0x2 // scalar offset *= bytes/element
s_mul_i32 s[sgprScalarGlobalReadOffsetB+10], s[sgprStrideB1J], 88 // compute offset diff (scaled tileDim)
s_lshl_b32 s[sgprScalarGlobalReadOffsetB+10], s[sgprScalarGlobalReadOffsetB+10], 0x2 // scalar offset *= bytes/element
s_mul_i32 s[sgprScalarGlobalReadOffsetB+11], s[sgprStrideB1J], 96 // compute offset diff (scaled tileDim)
s_lshl_b32 s[sgprScalarGlobalReadOffsetB+11], s[sgprScalarGlobalReadOffsetB+11], 0x2 // scalar offset *= bytes/element
s_mul_i32 s[sgprScalarGlobalReadOffsetB+12], s[sgprStrideB1J], 104 // compute offset diff (scaled tileDim)
s_lshl_b32 s[sgprScalarGlobalReadOffsetB+12], s[sgprScalarGlobalReadOffsetB+12], 0x2 // scalar offset *= bytes/element
s_mul_i32 s[sgprScalarGlobalReadOffsetB+13], s[sgprStrideB1J], 112 // compute offset diff (scaled tileDim)
s_lshl_b32 s[sgprScalarGlobalReadOffsetB+13], s[sgprScalarGlobalReadOffsetB+13], 0x2 // scalar offset *= bytes/element
s_mul_i32 s[sgprScalarGlobalReadOffsetB+14], s[sgprStrideB1J], 120 // compute offset diff (scaled tileDim)
s_lshl_b32 s[sgprScalarGlobalReadOffsetB+14], s[sgprScalarGlobalReadOffsetB+14], 0x2 // scalar offset *= bytes/element


/* global read addresses: addresses a */

/* max read offset = size[n] * stride[n-1] */
s_mul_hi_u32 s87, s[sgprWorkGroup0], 96            // WorkGroup[01] * MT
s_mul_i32 s86, s[sgprWorkGroup0], 96               // WorkGroup[01] * MT
s_sub_u32 s[sgprShadowLimitA+0], s[sgprTensor2dSizeA], s86 // sub tileStart
s_subb_u32 s[sgprShadowLimitA+1], s[sgprTensor2dSizeA+1], s87 // sub tileStart
s_lshl_b64 s[sgprShadowLimitA:sgprShadowLimitA+1], s[sgprShadowLimitA:sgprShadowLimitA+1], 0x2 // Set limit to use bytes
s_add_u32 s[sgprShadowLimitA+0], s[sgprShadowLimitA+0], 4 // extend limit for pre-pad
s_addc_u32 s[sgprShadowLimitA+1], s[sgprShadowLimitA+1], 0 // extend limit for pre-pad
s_cmp_eq_u32 s[sgprShadowLimitA+1], 0              // are we within 2^32?
s_cselect_b32 s[sgprSrdA+2], s[sgprShadowLimitA+0], BufferLimitA // Move shadow to real if we are within 2^32
s_mul_hi_u32 s85, s[sgprStrideAK], s[sgprWorkGroup2] // Stride*WG
s_mul_i32 s84, s[sgprStrideAK], s[sgprWorkGroup2]  // Stride*WG
s_add_u32 s86, s86, s84                            // accum wg term to tilestart
s_addc_u32 s87, s87, s85                           // accum wg term to tilestart
s_lshl_b64 s[86:87], s[86:87], 0x2                 // tileStart *= BPE
s_add_u32 s[sgprSrdA+0], s[sgprSrdA+0], s86        // SRD base = Address+ tileStart0
s_addc_u32 s[sgprSrdA+1], s[sgprSrdA+1], s87       // SRD base = Address+ tileStart1
s_mov_b32 s[sgprSrdA+3], Srd127_96                 // Set bits 127_96 in SRD


/* global read addresses: addresses b */

/* max read offset = size[n] * stride[n-1] */
s_mul_hi_u32 s87, s[sgprWorkGroup1], 128           // WorkGroup[01] * MT
s_mul_i32 s86, s[sgprWorkGroup1], 128              // WorkGroup[01] * MT
s_mul_hi_u32 s87, s86, s[sgprStrideB1J]            // tlu=0, scaled tile-offset by stride
s_mul_i32 s86, s86, s[sgprStrideB1J]               // tlu=0, scaled tile-offset by stride
s_sub_u32 s[sgprShadowLimitB+0], s[sgprTensor2dSizeB], s86 // sub tileStart
s_subb_u32 s[sgprShadowLimitB+1], s[sgprTensor2dSizeB+1], s87 // sub tileStart
s_lshl_b64 s[sgprShadowLimitB:sgprShadowLimitB+1], s[sgprShadowLimitB:sgprShadowLimitB+1], 0x2 // Set limit to use bytes
s_add_u32 s[sgprShadowLimitB+0], s[sgprShadowLimitB+0], 4 // extend limit for pre-pad
s_addc_u32 s[sgprShadowLimitB+1], s[sgprShadowLimitB+1], 0 // extend limit for pre-pad
s_cmp_eq_u32 s[sgprShadowLimitB+1], 0              // are we within 2^32?
s_cselect_b32 s[sgprSrdB+2], s[sgprShadowLimitB+0], BufferLimitB // Move shadow to real if we are within 2^32
s_mul_hi_u32 s85, s[sgprStrideBK], s[sgprWorkGroup2] // Stride*WG
s_mul_i32 s84, s[sgprStrideBK], s[sgprWorkGroup2]  // Stride*WG
s_add_u32 s86, s86, s84                            // accum wg term to tilestart
s_addc_u32 s87, s87, s85                           // accum wg term to tilestart
s_lshl_b64 s[86:87], s[86:87], 0x2                 // tileStart *= BPE
s_add_u32 s[sgprSrdB+0], s[sgprSrdB+0], s86        // SRD base = Address+ tileStart0
s_addc_u32 s[sgprSrdB+1], s[sgprSrdB+1], s87       // SRD base = Address+ tileStart1
s_mov_b32 s[sgprSrdB+3], Srd127_96                 // Set bits 127_96 in SRD


/* global read addresses: increments a */

s_mul_i32 s[sgprGlobalReadIncsA+0], DepthU*BpeA, s[sgprStrideAL] // incrA unrollIdx)


/* global read addresses: increments b */

s_mov_b32 s[sgprGlobalReadIncsB+0], DepthU*BpeB    // incrB (unrollIdx)

/* declare loop num iterations */


s_lshr_b32 s[sgprLoopCounterL], s[sgprSizesSum+0], 5 // s[sgprLoopCounterL] = s[sgprSizesSum+0] / 32
s_mov_b32 s[sgprOrigLoopCounter], s[sgprLoopCounterL] // copy loop counter

s_and_b32 s[sgprStaggerUIter], s[sgprOrigStaggerUIter], s[sgprWorkGroup0] // Compute actual stagger start for this tile
s_lshl_b32 s[sgprStaggerUIter], s[sgprStaggerUIter], 1 // shift by StaggerUStride


/* SRDs += (StaggerUIter) * GlobalReadIncsA+0 */
s_mul_hi_u32 s85, s[sgprStaggerUIter], s[sgprGlobalReadIncsA+0] //  stagger byte offset
s_mul_i32 s84, s[sgprStaggerUIter], s[sgprGlobalReadIncsA+0] //  stagger byte offset
s_mul_hi_u32 s[sgprWrapUA+1], s[sgprLoopCounterL], s[sgprGlobalReadIncsA+0] // Number of bytes accessed by the unroll loop
s_mul_i32 s[sgprWrapUA+0], s[sgprLoopCounterL], s[sgprGlobalReadIncsA+0] // Number of bytes accessed by the unroll loop
s_sub_u32 s[sgprWrapUA+0], s[sgprGlobalReadIncsA+0], s[sgprWrapUA+0] // remove one iteration
s_subb_u32 s[sgprWrapUA+1], 0, s[sgprWrapUA+1]     // remove one iteration
s_add_u32 s[sgprSrdA+0], s[sgprSrdA+0], s84        // gra SRD += inc(lower)
s_addc_u32  s[sgprSrdA+1], s[sgprSrdA+1], s85      // gra SRD += inc(upper)
s_sub_u32 s[sgprShadowLimitA+0], s[sgprShadowLimitA+0], s84 // limit -= inc)
s_subb_u32 s[sgprShadowLimitA+1], s[sgprShadowLimitA+1], s85 // limit -= inc)
s_cmp_eq_u32 s[sgprShadowLimitA+1], 0              // are we within 2^32?
s_cselect_b32 s[sgprSrdA+2], s[sgprShadowLimitA+0], BufferLimitA // Move shadow to real if we are within 2^32


/* SRDs += (StaggerUIter) * GlobalReadIncsB+0 */
s_mul_hi_u32 s85, s[sgprStaggerUIter], s[sgprGlobalReadIncsB+0] //  stagger byte offset
s_mul_i32 s84, s[sgprStaggerUIter], s[sgprGlobalReadIncsB+0] //  stagger byte offset
s_mul_hi_u32 s[sgprWrapUB+1], s[sgprLoopCounterL], s[sgprGlobalReadIncsB+0] // Number of bytes accessed by the unroll loop
s_mul_i32 s[sgprWrapUB+0], s[sgprLoopCounterL], s[sgprGlobalReadIncsB+0] // Number of bytes accessed by the unroll loop
s_sub_u32 s[sgprWrapUB+0], s[sgprGlobalReadIncsB+0], s[sgprWrapUB+0] // remove one iteration
s_subb_u32 s[sgprWrapUB+1], 0, s[sgprWrapUB+1]     // remove one iteration
s_add_u32 s[sgprSrdB+0], s[sgprSrdB+0], s84        // gra SRD += inc(lower)
s_addc_u32  s[sgprSrdB+1], s[sgprSrdB+1], s85      // gra SRD += inc(upper)
s_sub_u32 s[sgprShadowLimitB+0], s[sgprShadowLimitB+0], s84 // limit -= inc)
s_subb_u32 s[sgprShadowLimitB+1], s[sgprShadowLimitB+1], s85 // limit -= inc)
s_cmp_eq_u32 s[sgprShadowLimitB+1], 0              // are we within 2^32?
s_cselect_b32 s[sgprSrdB+2], s[sgprShadowLimitB+0], BufferLimitB // Move shadow to real if we are within 2^32
s_add_u32 s[sgprStaggerUIter], s[sgprStaggerUIter], 2 // Subtract (PGR-1); StaggerUIter now contains target iteration to wrap

/* local read addresses: init pointers a */


/* localReadInitPointers */

/* local read addresses: init pointers b */


/* localReadInitPointers */


/* prefetch: global -> local */

s_cmp_eq_u32 s[sgprLoopCounterL], 0                // at last iteration?
s_cbranch_scc1 ShadowInitStart_10                  // skip to ShadowInitStart iter b/c numIter==0


_buffer_load_b32 v[vgprG2LA+0], v[vgprGlobalReadOffsetA+0], s[sgprSrdA:sgprSrdA+3], 0, offen offset:0 // G -> Reg 0_0_0_0
_buffer_load_b32 v[vgprG2LA+1], v[vgprGlobalReadOffsetA+0], s[sgprSrdA:sgprSrdA+3], s[sgprScalarGlobalReadOffsetA+0], offen offset:0 // G -> Reg 1_0_0_0
_buffer_load_b32 v[vgprG2LA+2], v[vgprGlobalReadOffsetA+0], s[sgprSrdA:sgprSrdA+3], s[sgprScalarGlobalReadOffsetA+1], offen offset:0 // G -> Reg 2_0_0_0
_buffer_load_b32 v[vgprG2LA+3], v[vgprGlobalReadOffsetA+0], s[sgprSrdA:sgprSrdA+3], s[sgprScalarGlobalReadOffsetA+2], offen offset:0 // G -> Reg 0_0_1_0
_buffer_load_b32 v[vgprG2LA+4], v[vgprGlobalReadOffsetA+0], s[sgprSrdA:sgprSrdA+3], s[sgprScalarGlobalReadOffsetA+3], offen offset:0 // G -> Reg 1_0_1_0
_buffer_load_b32 v[vgprG2LA+5], v[vgprGlobalReadOffsetA+0], s[sgprSrdA:sgprSrdA+3], s[sgprScalarGlobalReadOffsetA+4], offen offset:0 // G -> Reg 2_0_1_0
_buffer_load_b32 v[vgprG2LA+6], v[vgprGlobalReadOffsetA+0], s[sgprSrdA:sgprSrdA+3], s[sgprScalarGlobalReadOffsetA+5], offen offset:0 // G -> Reg 0_0_2_0
_buffer_load_b32 v[vgprG2LA+7], v[vgprGlobalReadOffsetA+0], s[sgprSrdA:sgprSrdA+3], s[sgprScalarGlobalReadOffsetA+6], offen offset:0 // G -> Reg 1_0_2_0
_buffer_load_b32 v[vgprG2LA+8], v[vgprGlobalReadOffsetA+0], s[sgprSrdA:sgprSrdA+3], s[sgprScalarGlobalReadOffsetA+7], offen offset:0 // G -> Reg 2_0_2_0
_buffer_load_b32 v[vgprG2LA+9], v[vgprGlobalReadOffsetA+0], s[sgprSrdA:sgprSrdA+3], s[sgprScalarGlobalReadOffsetA+8], offen offset:0 // G -> Reg 0_0_3_0
_buffer_load_b32 v[vgprG2LA+10], v[vgprGlobalReadOffsetA+0], s[sgprSrdA:sgprSrdA+3], s[sgprScalarGlobalReadOffsetA+9], offen offset:0 // G -> Reg 1_0_3_0
_buffer_load_b32 v[vgprG2LA+11], v[vgprGlobalReadOffsetA+0], s[sgprSrdA:sgprSrdA+3], s[sgprScalarGlobalReadOffsetA+10], offen offset:0 // G -> Reg 2_0_3_0


_buffer_load_b32 v[vgprG2LB+0], v[vgprGlobalReadOffsetB+0], s[sgprSrdB:sgprSrdB+3], 0, offen offset:0 // G -> Reg 0_0_0_0
_buffer_load_b32 v[vgprG2LB+1], v[vgprGlobalReadOffsetB+0], s[sgprSrdB:sgprSrdB+3], s[sgprScalarGlobalReadOffsetB+0], offen offset:0 // G -> Reg 0_0_1_0
_buffer_load_b32 v[vgprG2LB+2], v[vgprGlobalReadOffsetB+0], s[sgprSrdB:sgprSrdB+3], s[sgprScalarGlobalReadOffsetB+1], offen offset:0 // G -> Reg 0_0_2_0
_buffer_load_b32 v[vgprG2LB+3], v[vgprGlobalReadOffsetB+0], s[sgprSrdB:sgprSrdB+3], s[sgprScalarGlobalReadOffsetB+2], offen offset:0 // G -> Reg 0_0_3_0
_buffer_load_b32 v[vgprG2LB+4], v[vgprGlobalReadOffsetB+0], s[sgprSrdB:sgprSrdB+3], s[sgprScalarGlobalReadOffsetB+3], offen offset:0 // G -> Reg 0_0_4_0
_buffer_load_b32 v[vgprG2LB+5], v[vgprGlobalReadOffsetB+0], s[sgprSrdB:sgprSrdB+3], s[sgprScalarGlobalReadOffsetB+4], offen offset:0 // G -> Reg 0_0_5_0
_buffer_load_b32 v[vgprG2LB+6], v[vgprGlobalReadOffsetB+0], s[sgprSrdB:sgprSrdB+3], s[sgprScalarGlobalReadOffsetB+5], offen offset:0 // G -> Reg 0_0_6_0
_buffer_load_b32 v[vgprG2LB+7], v[vgprGlobalReadOffsetB+0], s[sgprSrdB:sgprSrdB+3], s[sgprScalarGlobalReadOffsetB+6], offen offset:0 // G -> Reg 0_0_7_0
_buffer_load_b32 v[vgprG2LB+8], v[vgprGlobalReadOffsetB+0], s[sgprSrdB:sgprSrdB+3], s[sgprScalarGlobalReadOffsetB+7], offen offset:0 // G -> Reg 0_0_8_0
_buffer_load_b32 v[vgprG2LB+9], v[vgprGlobalReadOffsetB+0], s[sgprSrdB:sgprSrdB+3], s[sgprScalarGlobalReadOffsetB+8], offen offset:0 // G -> Reg 0_0_9_0
_buffer_load_b32 v[vgprG2LB+10], v[vgprGlobalReadOffsetB+0], s[sgprSrdB:sgprSrdB+3], s[sgprScalarGlobalReadOffsetB+9], offen offset:0 // G -> Reg 0_0_10_0
_buffer_load_b32 v[vgprG2LB+11], v[vgprGlobalReadOffsetB+0], s[sgprSrdB:sgprSrdB+3], s[sgprScalarGlobalReadOffsetB+10], offen offset:0 // G -> Reg 0_0_11_0
_buffer_load_b32 v[vgprG2LB+12], v[vgprGlobalReadOffsetB+0], s[sgprSrdB:sgprSrdB+3], s[sgprScalarGlobalReadOffsetB+11], offen offset:0 // G -> Reg 0_0_12_0
_buffer_load_b32 v[vgprG2LB+13], v[vgprGlobalReadOffsetB+0], s[sgprSrdB:sgprSrdB+3], s[sgprScalarGlobalReadOffsetB+12], offen offset:0 // G -> Reg 0_0_13_0
_buffer_load_b32 v[vgprG2LB+14], v[vgprGlobalReadOffsetB+0], s[sgprSrdB:sgprSrdB+3], s[sgprScalarGlobalReadOffsetB+13], offen offset:0 // G -> Reg 0_0_14_0
_buffer_load_b32 v[vgprG2LB+15], v[vgprGlobalReadOffsetB+0], s[sgprSrdB:sgprSrdB+3], s[sgprScalarGlobalReadOffsetB+14], offen offset:0 // G -> Reg 0_0_15_0


/* global read inc A loopL */
s_add_u32 s86, s[sgprLoopCounterL], 1              // remove pf(1)
s_cmp_eq_u32 s[sgprStaggerUIter], s86              // Is this wrapIter? (pf)
s_cselect_b32 s84, s[sgprWrapUA+0], s[sgprGlobalReadIncsA+0] // incLower <- ?
s_cselect_b32 s85, s[sgprWrapUA+1], 0              // incUpper <- ?
s_add_u32 s[sgprSrdA+0], s[sgprSrdA+0], s84        // gra SRD += inc(lower)
s_addc_u32  s[sgprSrdA+1], s[sgprSrdA+1], s85      // gra SRD += inc(upper)
s_sub_u32 s[sgprShadowLimitA+0], s[sgprShadowLimitA+0], s84 // limit -= inc)
s_subb_u32 s[sgprShadowLimitA+1], s[sgprShadowLimitA+1], s85 // limit -= inc)
s_cmp_eq_u32 s[sgprShadowLimitA+1], 0              // are we within 2^32?
s_cselect_b32 s[sgprSrdA+2], s[sgprShadowLimitA+0], BufferLimitA // Move shadow to real if we are within 2^32

/* global read inc B loopL */
s_add_u32 s86, s[sgprLoopCounterL], 1              // remove pf(1)
s_cmp_eq_u32 s[sgprStaggerUIter], s86              // Is this wrapIter? (pf)
s_cselect_b32 s84, s[sgprWrapUB+0], s[sgprGlobalReadIncsB+0] // incLower <- ?
s_cselect_b32 s85, s[sgprWrapUB+1], 0              // incUpper <- ?
s_add_u32 s[sgprSrdB+0], s[sgprSrdB+0], s84        // gra SRD += inc(lower)
s_addc_u32  s[sgprSrdB+1], s[sgprSrdB+1], s85      // gra SRD += inc(upper)
s_sub_u32 s[sgprShadowLimitB+0], s[sgprShadowLimitB+0], s84 // limit -= inc)
s_subb_u32 s[sgprShadowLimitB+1], s[sgprShadowLimitB+1], s85 // limit -= inc)
s_cmp_eq_u32 s[sgprShadowLimitB+1], 0              // are we within 2^32?
s_cselect_b32 s[sgprSrdB+2], s[sgprShadowLimitB+0], BufferLimitB // Move shadow to real if we are within 2^32


/******************************************/
/* End setupNewTile, isPap=False             */
/******************************************/

ShadowInitStart_10: // 

s_mov_b32 s[sgprSrdD+2], BufferOOB                 // 
s_mov_b32 s[sgprSrdD+3], Srd127_96                 // Set bits 127_96 in post-loop SRD

s_mov_b32 s[sgprSrdC+2], BufferOOB                 // 
s_mov_b32 s[sgprSrdC+3], Srd127_96                 // Set bits 127_96 in post-loop SRD


s_mul_i32 s86, MT1, s[sgprWorkGroup1]              // <- wg1*MT1
s_mul_hi_u32 s85, s86, s[sgprStrideC1J]            // CScale s86 by Stride
s_mul_i32 s84, s86, s[sgprStrideC1J]               // CScale s86 by Stride
s_lshl_b64 s[84:85], s[84:85], 2                   // scale by bpe
s_add_u32 s[sgprSrdC+0], s[sgprSrdC+0], s84        // add lo to SRD
s_addc_u32 s[sgprSrdC+1], s[sgprSrdC+1], s85       // add hi to SRD
s_mul_hi_u32 s85, s86, s[sgprStrideD1J]            // Scale s86 by Stride
s_mul_i32 s84, s86, s[sgprStrideD1J]               // Scale s86 by Stride
s_lshl_b64 s[84:85], s[84:85], 2                   // scale by bpe
s_add_u32 s[sgprSrdD+0], s[sgprSrdD+0], s84        // add lo to SRD
s_addc_u32 s[sgprSrdD+1], s[sgprSrdD+1], s85       // add hi to SRD

s_mul_hi_u32 s85, s[sgprWorkGroup2], s[sgprStrideCK] // CScale s[sgprWorkGroup2] by Stride
s_mul_i32 s84, s[sgprWorkGroup2], s[sgprStrideCK]  // CScale s[sgprWorkGroup2] by Stride
s_lshl_b64 s[84:85], s[84:85], 2                   // scale by bpe
s_add_u32 s[sgprSrdC+0], s[sgprSrdC+0], s84        // add lo to SRD
s_addc_u32 s[sgprSrdC+1], s[sgprSrdC+1], s85       // add hi to SRD
s_mul_hi_u32 s85, s[sgprWorkGroup2], s[sgprStrideDK] // Scale s[sgprWorkGroup2] by Stride
s_mul_i32 s84, s[sgprWorkGroup2], s[sgprStrideDK]  // Scale s[sgprWorkGroup2] by Stride
s_lshl_b64 s[84:85], s[84:85], 2                   // scale by bpe
s_add_u32 s[sgprSrdD+0], s[sgprSrdD+0], s84        // add lo to SRD
s_addc_u32 s[sgprSrdD+1], s[sgprSrdD+1], s85       // add hi to SRD


	;; [unrolled: 1-line block ×3, first 2 shown]
/* initC: remove C-tile 0-0 from pool */

/* initC: remove AB-tile 0-56 from pool */
v_accvgpr_write acc0, 0x0                          // initC
v_accvgpr_write acc1, 0x0                          // initC
v_accvgpr_write acc2, 0x0                          // initC
v_accvgpr_write acc3, 0x0                          // initC
v_accvgpr_write acc4, 0x0                          // initC
v_accvgpr_write acc5, 0x0                          // initC
v_accvgpr_write acc6, 0x0                          // initC
v_accvgpr_write acc7, 0x0                          // initC
v_accvgpr_write acc8, 0x0                          // initC
v_accvgpr_write acc9, 0x0                          // initC
v_accvgpr_write acc10, 0x0                         // initC
v_accvgpr_write acc11, 0x0                         // initC
v_accvgpr_write acc12, 0x0                         // initC
v_accvgpr_write acc13, 0x0                         // initC
v_accvgpr_write acc14, 0x0                         // initC
v_accvgpr_write acc15, 0x0                         // initC
v_accvgpr_write acc16, 0x0                         // initC
v_accvgpr_write acc17, 0x0                         // initC
v_accvgpr_write acc18, 0x0                         // initC
v_accvgpr_write acc19, 0x0                         // initC
v_accvgpr_write acc20, 0x0                         // initC
v_accvgpr_write acc21, 0x0                         // initC
v_accvgpr_write acc22, 0x0                         // initC
v_accvgpr_write acc23, 0x0                         // initC
v_accvgpr_write acc24, 0x0                         // initC
v_accvgpr_write acc25, 0x0                         // initC
v_accvgpr_write acc26, 0x0                         // initC
v_accvgpr_write acc27, 0x0                         // initC
v_accvgpr_write acc28, 0x0                         // initC
v_accvgpr_write acc29, 0x0                         // initC
v_accvgpr_write acc30, 0x0                         // initC
v_accvgpr_write acc31, 0x0                         // initC
v_accvgpr_write acc32, 0x0                         // initC
v_accvgpr_write acc33, 0x0                         // initC
v_accvgpr_write acc34, 0x0                         // initC
v_accvgpr_write acc35, 0x0                         // initC
v_accvgpr_write acc36, 0x0                         // initC
v_accvgpr_write acc37, 0x0                         // initC
v_accvgpr_write acc38, 0x0                         // initC
v_accvgpr_write acc39, 0x0                         // initC
v_accvgpr_write acc40, 0x0                         // initC
v_accvgpr_write acc41, 0x0                         // initC
v_accvgpr_write acc42, 0x0                         // initC
v_accvgpr_write acc43, 0x0                         // initC
v_accvgpr_write acc44, 0x0                         // initC
v_accvgpr_write acc45, 0x0                         // initC
v_accvgpr_write acc46, 0x0                         // initC
v_accvgpr_write acc47, 0x0                         // initC

s_cmp_eq_u32 s[sgprLoopCounterL], 0                // at last iteration?

/* after InitC, skip to end of prefetch last iter if numIter==0 */
s_cbranch_scc0 label_NoBranch_11                   // Only branch on scc1
s_getpc_B64 s[84:85]                               // addr of next instr
s_add_i32 s86, PrefetchGlobalLastIterEnd_5, 0x4    // target branch offset
s_add_u32 s84, s84, s86                            // add target branch offset
s_addc_u32 s85, s85, 0                             // add high and carry
s_setpc_b64 s[84:85]                               // branch to PrefetchGlobalLastIterEnd_5
label_NoBranch_11:

s_waitcnt vmcnt(0)                                 // lgkmcnt=-1 vmcnt=0 8wait for global read


/* local write a */
_ds_store_b32 v[vgprLocalWriteAddrA], v[vgprG2LA+0] offset:0 // lwoA_0_0_0_0 = (0*LSCA) + (0*LSPA)(*MT0I+PAD) = 0
_ds_store_b32 v[vgprLocalWriteAddrA], v[vgprG2LA+1] offset:128 // lwoA_1_0_0_0 = (1*LSCA) + (0*LSPA)(*MT0I+PAD) = 128
_ds_store_b32 v[vgprLocalWriteAddrA], v[vgprG2LA+2] offset:256 // lwoA_2_0_0_0 = (2*LSCA) + (0*LSPA)(*MT0I+PAD) = 256
_ds_store_b32 v[vgprLocalWriteAddrA], v[vgprG2LA+3] offset:3584 // lwoA_0_0_1_0 = (0*LSCA) + (1*LSPA)(*MT0I+PAD) = 3584
_ds_store_b32 v[vgprLocalWriteAddrA], v[vgprG2LA+4] offset:3712 // lwoA_1_0_1_0 = (1*LSCA) + (1*LSPA)(*MT0I+PAD) = 3712
_ds_store_b32 v[vgprLocalWriteAddrA], v[vgprG2LA+5] offset:3840 // lwoA_2_0_1_0 = (2*LSCA) + (1*LSPA)(*MT0I+PAD) = 3840
_ds_store_b32 v[vgprLocalWriteAddrA], v[vgprG2LA+6] offset:7168 // lwoA_0_0_2_0 = (0*LSCA) + (2*LSPA)(*MT0I+PAD) = 7168
_ds_store_b32 v[vgprLocalWriteAddrA], v[vgprG2LA+7] offset:7296 // lwoA_1_0_2_0 = (1*LSCA) + (2*LSPA)(*MT0I+PAD) = 7296
_ds_store_b32 v[vgprLocalWriteAddrA], v[vgprG2LA+8] offset:7424 // lwoA_2_0_2_0 = (2*LSCA) + (2*LSPA)(*MT0I+PAD) = 7424
_ds_store_b32 v[vgprLocalWriteAddrA], v[vgprG2LA+9] offset:10752 // lwoA_0_0_3_0 = (0*LSCA) + (3*LSPA)(*MT0I+PAD) = 10752
_ds_store_b32 v[vgprLocalWriteAddrA], v[vgprG2LA+10] offset:10880 // lwoA_1_0_3_0 = (1*LSCA) + (3*LSPA)(*MT0I+PAD) = 10880
_ds_store_b32 v[vgprLocalWriteAddrA], v[vgprG2LA+11] offset:11008 // lwoA_2_0_3_0 = (2*LSCA) + (3*LSPA)(*MT0I+PAD) = 11008

/* local write b */
_ds_store_b32 v[vgprLocalWriteAddrB], v[vgprG2LB+0] offset:0 // lwoB_0_0_0_0 = (0*LSCB)*(MT1J+PAD) + (0*LSPB) = 0
_ds_store_b32 v[vgprLocalWriteAddrB], v[vgprG2LB+1] offset:1056 // lwoB_0_0_1_0 = (0*LSCB)*(MT1J+PAD) + (1*LSPB) = 1056
_ds_store_b32 v[vgprLocalWriteAddrB], v[vgprG2LB+2] offset:2112 // lwoB_0_0_2_0 = (0*LSCB)*(MT1J+PAD) + (2*LSPB) = 2112
_ds_store_b32 v[vgprLocalWriteAddrB], v[vgprG2LB+3] offset:3168 // lwoB_0_0_3_0 = (0*LSCB)*(MT1J+PAD) + (3*LSPB) = 3168
_ds_store_b32 v[vgprLocalWriteAddrB], v[vgprG2LB+4] offset:4224 // lwoB_0_0_4_0 = (0*LSCB)*(MT1J+PAD) + (4*LSPB) = 4224
_ds_store_b32 v[vgprLocalWriteAddrB], v[vgprG2LB+5] offset:5280 // lwoB_0_0_5_0 = (0*LSCB)*(MT1J+PAD) + (5*LSPB) = 5280
_ds_store_b32 v[vgprLocalWriteAddrB], v[vgprG2LB+6] offset:6336 // lwoB_0_0_6_0 = (0*LSCB)*(MT1J+PAD) + (6*LSPB) = 6336
_ds_store_b32 v[vgprLocalWriteAddrB], v[vgprG2LB+7] offset:7392 // lwoB_0_0_7_0 = (0*LSCB)*(MT1J+PAD) + (7*LSPB) = 7392
_ds_store_b32 v[vgprLocalWriteAddrB], v[vgprG2LB+8] offset:8448 // lwoB_0_0_8_0 = (0*LSCB)*(MT1J+PAD) + (8*LSPB) = 8448
_ds_store_b32 v[vgprLocalWriteAddrB], v[vgprG2LB+9] offset:9504 // lwoB_0_0_9_0 = (0*LSCB)*(MT1J+PAD) + (9*LSPB) = 9504
_ds_store_b32 v[vgprLocalWriteAddrB], v[vgprG2LB+10] offset:10560 // lwoB_0_0_10_0 = (0*LSCB)*(MT1J+PAD) + (10*LSPB) = 10560
_ds_store_b32 v[vgprLocalWriteAddrB], v[vgprG2LB+11] offset:11616 // lwoB_0_0_11_0 = (0*LSCB)*(MT1J+PAD) + (11*LSPB) = 11616
_ds_store_b32 v[vgprLocalWriteAddrB], v[vgprG2LB+12] offset:12672 // lwoB_0_0_12_0 = (0*LSCB)*(MT1J+PAD) + (12*LSPB) = 12672
_ds_store_b32 v[vgprLocalWriteAddrB], v[vgprG2LB+13] offset:13728 // lwoB_0_0_13_0 = (0*LSCB)*(MT1J+PAD) + (13*LSPB) = 13728
_ds_store_b32 v[vgprLocalWriteAddrB], v[vgprG2LB+14] offset:14784 // lwoB_0_0_14_0 = (0*LSCB)*(MT1J+PAD) + (14*LSPB) = 14784
_ds_store_b32 v[vgprLocalWriteAddrB], v[vgprG2LB+15] offset:15840 // lwoB_0_0_15_0 = (0*LSCB)*(MT1J+PAD) + (15*LSPB) = 15840


/* local write swap a */


	;; [unrolled: 1-line block ×3, first 2 shown]
/* local write swap b */


	;; [unrolled: 1-line block ×4, first 2 shown]
s_waitcnt lgkmcnt(0)                               // lgkmcnt=0 vmcnt=-10prefetch wait for local write

s_waitcnt lgkmcnt(0) & vmcnt(0)                    // force waitcnt0
s_barrier //


/* local read prefetch a */

_ds_load_b32 v[vgprValuA_X0_I0+0], v[vgprLocalReadAddrA] offset:0 // L -> Reg lro=0 swapByteOffset=0 ti=32 vIdx=0 rIdx=0 oIdx=0 buffer=0 iui=0
_ds_load_b32 v[vgprValuA_X0_I0+1], v[vgprLocalReadAddrA] offset:128 // L -> Reg lro=0 swapByteOffset=0 ti=32 vIdx=1 rIdx=0 oIdx=0 buffer=0 iui=0
	;; [unrolled: 1-line block ×3, first 2 shown]


/* local read prefetch b */

_ds_load_b32 v[vgprValuB_X0_I0+0], v[vgprLocalReadAddrB] offset:0 // L -> Reg lro=0 swapByteOffset=0 ti=64 vIdx=0 rIdx=0 oIdx=0 buffer=0 iui=0
_ds_load_b32 v[vgprValuB_X0_I0+1], v[vgprLocalReadAddrB] offset:128 // L -> Reg lro=0 swapByteOffset=0 ti=64 vIdx=0 rIdx=0 oIdx=0 buffer=0 iui=0
	;; [unrolled: 1-line block ×4, first 2 shown]


/* local read inc a */

/* N/A, lro->448 */
/* self.localReadDoCntA 1 self.localReadDoCntB 1 */


/* local read inc b */

/* N/A, lro->4 */
/* self.localReadDoCntA 1 self.localReadDoCntB 1 */


	;; [unrolled: 1-line block ×3, first 2 shown]
/******************************************/
/* Unrolled Loop(s) - Begin               */
/******************************************/

openLoopL_12:
s_cmp_le_u32 s[sgprLoopCounterL], 0x1              // LoopCounterL < EndCounter
s_cbranch_scc1 LoopEndL_2                          // do not enter LoopL
LoopBeginL_1:


/******************************************/
/* Unrolled Loop 1/2 - Begin              */
/******************************************/

label_0013: // LoopCopy1 


/* Begin Each Unroll: Check VGPR.checkin for INT8 LW */


	;; [unrolled: 1-line block ×3, first 2 shown]
/* iter 0 */

/*  grEndMfmaIndex:27, lwStartMfmaIndex:61, lwEndMfmaIndex:88  */
/*  numMfmaForLR:4, barrierMfmaIndex:91 */
/*  mfmaIndex:0  */
_buffer_load_b32 v[vgprG2LA+0], v[vgprGlobalReadOffsetA+0], s[sgprSrdA:sgprSrdA+3], 0, offen offset:0 // G -> Reg 0_0_0_0
s_waitcnt lgkmcnt(0)                               // lgkmcnt=0 vmcnt=-1wait for prior local read local write old=0, new=0 newLW=0 newLR=0
v_mfma_f32_16x16x4_f32 a[0+0:3+0], v[vgprValuA_X0_I0+0+0+0], v[vgprValuB_X0_I0+0+0+0], a[0:3]
/*  mfmaIndex:1  */
_ds_load_b32 v[vgprValuA_X1_I0+0], v[vgprLocalReadAddrA] offset:1792 // L -> Reg lro=448 swapByteOffset=0 ti=32 vIdx=0 rIdx=0 oIdx=0 buffer=1 iui=0
_ds_load_b32 v[vgprValuB_X1_I0+0], v[vgprLocalReadAddrB] offset:16 // L -> Reg lro=4 swapByteOffset=0 ti=64 vIdx=0 rIdx=0 oIdx=0 buffer=1 iui=0
_buffer_load_b32 v[vgprG2LA+1], v[vgprGlobalReadOffsetA+0], s[sgprSrdA:sgprSrdA+3], s[sgprScalarGlobalReadOffsetA+0], offen offset:0 // G -> Reg 1_0_0_0
v_mfma_f32_16x16x4_f32 a[4+0:7+0], v[vgprValuA_X0_I0+1+0+0], v[vgprValuB_X0_I0+0+0+0], a[4:7]
/*  mfmaIndex:2  */
_ds_load_b32 v[vgprValuA_X1_I0+1], v[vgprLocalReadAddrA] offset:1920 // L -> Reg lro=448 swapByteOffset=0 ti=32 vIdx=1 rIdx=0 oIdx=0 buffer=1 iui=0
_ds_load_b32 v[vgprValuA_X1_I0+2], v[vgprLocalReadAddrA] offset:2048 // L -> Reg lro=448 swapByteOffset=0 ti=32 vIdx=2 rIdx=0 oIdx=0 buffer=1 iui=0
_buffer_load_b32 v[vgprG2LA+2], v[vgprGlobalReadOffsetA+0], s[sgprSrdA:sgprSrdA+3], s[sgprScalarGlobalReadOffsetA+1], offen offset:0 // G -> Reg 2_0_0_0
v_mfma_f32_16x16x4_f32 a[8+0:11+0], v[vgprValuA_X0_I0+2+0+0], v[vgprValuB_X0_I0+0+0+0], a[8:11]
/*  mfmaIndex:3  */
_ds_load_b32 v[vgprValuB_X1_I0+1], v[vgprLocalReadAddrB] offset:144 // L -> Reg lro=4 swapByteOffset=0 ti=64 vIdx=0 rIdx=0 oIdx=0 buffer=1 iui=0
_ds_load_b32 v[vgprValuB_X1_I0+2], v[vgprLocalReadAddrB] offset:8464 // L -> Reg lro=4 swapByteOffset=0 ti=64 vIdx=1 rIdx=0 oIdx=0 buffer=1 iui=0
_buffer_load_b32 v[vgprG2LA+3], v[vgprGlobalReadOffsetA+0], s[sgprSrdA:sgprSrdA+3], s[sgprScalarGlobalReadOffsetA+2], offen offset:0 // G -> Reg 0_0_1_0
v_mfma_f32_16x16x4_f32 a[20+0:23+0], v[vgprValuA_X0_I0+2+0+0], v[vgprValuB_X0_I0+1+0+0], a[20:23]
/*  mfmaIndex:4  */
_ds_load_b32 v[vgprValuB_X1_I0+3], v[vgprLocalReadAddrB] offset:8592 // L -> Reg lro=4 swapByteOffset=0 ti=64 vIdx=1 rIdx=0 oIdx=0 buffer=1 iui=0
/* localReadsVacancy: latencyLeft 3 */
_ds_load_b32 v[vgprValuA_X2_I0+0], v[vgprLocalReadAddrA] offset:3584 // L -> Reg lro=896 swapByteOffset=0 ti=32 vIdx=0 rIdx=0 oIdx=0 buffer=2 iui=0
_buffer_load_b32 v[vgprG2LA+4], v[vgprGlobalReadOffsetA+0], s[sgprSrdA:sgprSrdA+3], s[sgprScalarGlobalReadOffsetA+3], offen offset:0 // G -> Reg 1_0_1_0
v_mfma_f32_16x16x4_f32 a[16+0:19+0], v[vgprValuA_X0_I0+1+0+0], v[vgprValuB_X0_I0+1+0+0], a[16:19]
/*  mfmaIndex:5  */
/* localReadsVacancy: latencyLeft 5 */
_ds_load_b32 v[vgprValuB_X2_I0+0], v[vgprLocalReadAddrB] offset:32 // L -> Reg lro=8 swapByteOffset=0 ti=64 vIdx=0 rIdx=0 oIdx=0 buffer=2 iui=0
_ds_load_b32 v[vgprValuA_X2_I0+1], v[vgprLocalReadAddrA] offset:3712 // L -> Reg lro=896 swapByteOffset=0 ti=32 vIdx=1 rIdx=0 oIdx=0 buffer=2 iui=0
_buffer_load_b32 v[vgprG2LA+5], v[vgprGlobalReadOffsetA+0], s[sgprSrdA:sgprSrdA+3], s[sgprScalarGlobalReadOffsetA+4], offen offset:0 // G -> Reg 2_0_1_0
v_mfma_f32_16x16x4_f32 a[12+0:15+0], v[vgprValuA_X0_I0+0+0+0], v[vgprValuB_X0_I0+1+0+0], a[12:15]
/*  mfmaIndex:6  */
/* localReadsVacancy: latencyLeft 5 */
_ds_load_b32 v[vgprValuA_X2_I0+2], v[vgprLocalReadAddrA] offset:3840 // L -> Reg lro=896 swapByteOffset=0 ti=32 vIdx=2 rIdx=0 oIdx=0 buffer=2 iui=0
_ds_load_b32 v[vgprValuB_X2_I0+1], v[vgprLocalReadAddrB] offset:160 // L -> Reg lro=8 swapByteOffset=0 ti=64 vIdx=0 rIdx=0 oIdx=0 buffer=2 iui=0
_buffer_load_b32 v[vgprG2LA+6], v[vgprGlobalReadOffsetA+0], s[sgprSrdA:sgprSrdA+3], s[sgprScalarGlobalReadOffsetA+5], offen offset:0 // G -> Reg 0_0_2_0
v_mfma_f32_16x16x4_f32 a[24+0:27+0], v[vgprValuA_X0_I0+0+0+0], v[vgprValuB_X0_I0+2+0+0], a[24:27]
/*  mfmaIndex:7  */
/* localReadsVacancy: latencyLeft 5 */
_ds_load_b32 v[vgprValuB_X2_I0+2], v[vgprLocalReadAddrB] offset:8480 // L -> Reg lro=8 swapByteOffset=0 ti=64 vIdx=1 rIdx=0 oIdx=0 buffer=2 iui=0
_ds_load_b32 v[vgprValuB_X2_I0+3], v[vgprLocalReadAddrB] offset:8608 // L -> Reg lro=8 swapByteOffset=0 ti=64 vIdx=1 rIdx=0 oIdx=0 buffer=2 iui=0
_buffer_load_b32 v[vgprG2LA+7], v[vgprGlobalReadOffsetA+0], s[sgprSrdA:sgprSrdA+3], s[sgprScalarGlobalReadOffsetA+6], offen offset:0 // G -> Reg 1_0_2_0
v_mfma_f32_16x16x4_f32 a[28+0:31+0], v[vgprValuA_X0_I0+1+0+0], v[vgprValuB_X0_I0+2+0+0], a[28:31]
/*  mfmaIndex:8  */
/* localReadsVacancy: latencyLeft 5 */
_ds_load_b32 v[vgprValuA_X3_I0+0], v[vgprLocalReadAddrA] offset:5376 // L -> Reg lro=1344 swapByteOffset=0 ti=32 vIdx=0 rIdx=0 oIdx=0 buffer=3 iui=0
_ds_load_b32 v[vgprValuB_X3_I0+0], v[vgprLocalReadAddrB] offset:48 // L -> Reg lro=12 swapByteOffset=0 ti=64 vIdx=0 rIdx=0 oIdx=0 buffer=3 iui=0
_buffer_load_b32 v[vgprG2LA+8], v[vgprGlobalReadOffsetA+0], s[sgprSrdA:sgprSrdA+3], s[sgprScalarGlobalReadOffsetA+7], offen offset:0 // G -> Reg 2_0_2_0
v_mfma_f32_16x16x4_f32 a[32+0:35+0], v[vgprValuA_X0_I0+2+0+0], v[vgprValuB_X0_I0+2+0+0], a[32:35]
/*  mfmaIndex:9  */
/* localReadsVacancy: latencyLeft 5 */
_ds_load_b32 v[vgprValuA_X3_I0+1], v[vgprLocalReadAddrA] offset:5504 // L -> Reg lro=1344 swapByteOffset=0 ti=32 vIdx=1 rIdx=0 oIdx=0 buffer=3 iui=0
_ds_load_b32 v[vgprValuA_X3_I0+2], v[vgprLocalReadAddrA] offset:5632 // L -> Reg lro=1344 swapByteOffset=0 ti=32 vIdx=2 rIdx=0 oIdx=0 buffer=3 iui=0
_buffer_load_b32 v[vgprG2LA+9], v[vgprGlobalReadOffsetA+0], s[sgprSrdA:sgprSrdA+3], s[sgprScalarGlobalReadOffsetA+8], offen offset:0 // G -> Reg 0_0_3_0
v_mfma_f32_16x16x4_f32 a[44+0:47+0], v[vgprValuA_X0_I0+2+0+0], v[vgprValuB_X0_I0+3+0+0], a[44:47]
/*  mfmaIndex:10  */
/* localReadsVacancy: latencyLeft 5 */
_ds_load_b32 v[vgprValuB_X3_I0+1], v[vgprLocalReadAddrB] offset:176 // L -> Reg lro=12 swapByteOffset=0 ti=64 vIdx=0 rIdx=0 oIdx=0 buffer=3 iui=0
_ds_load_b32 v[vgprValuB_X3_I0+2], v[vgprLocalReadAddrB] offset:8496 // L -> Reg lro=12 swapByteOffset=0 ti=64 vIdx=1 rIdx=0 oIdx=0 buffer=3 iui=0
_buffer_load_b32 v[vgprG2LA+10], v[vgprGlobalReadOffsetA+0], s[sgprSrdA:sgprSrdA+3], s[sgprScalarGlobalReadOffsetA+9], offen offset:0 // G -> Reg 1_0_3_0
v_mfma_f32_16x16x4_f32 a[40+0:43+0], v[vgprValuA_X0_I0+1+0+0], v[vgprValuB_X0_I0+3+0+0], a[40:43]
/*  mfmaIndex:11  */
/* localReadsVacancy: latencyLeft 5 */
_ds_load_b32 v[vgprValuB_X3_I0+3], v[vgprLocalReadAddrB] offset:8624 // L -> Reg lro=12 swapByteOffset=0 ti=64 vIdx=1 rIdx=0 oIdx=0 buffer=3 iui=0
_ds_load_b32 v[vgprValuA_X4_I0+0], v[vgprLocalReadAddrA] offset:7168 // L -> Reg lro=1792 swapByteOffset=0 ti=32 vIdx=0 rIdx=0 oIdx=0 buffer=4 iui=0
_buffer_load_b32 v[vgprG2LA+11], v[vgprGlobalReadOffsetA+0], s[sgprSrdA:sgprSrdA+3], s[sgprScalarGlobalReadOffsetA+10], offen offset:0 // G -> Reg 2_0_3_0
v_mfma_f32_16x16x4_f32 a[36+0:39+0], v[vgprValuA_X0_I0+0+0+0], v[vgprValuB_X0_I0+3+0+0], a[36:39]
/* numPrefetchIter=0 */
/* dataAtIterA=-1 numReadsIterA=1 skipReadsIterA=1 readsPerIterA=3 */
/* dataAtIterB=-1 numReadsIterB=1 skipReadsIterB=1 readsPerIterB=4 */


/* iter 1 */

/*  grEndMfmaIndex:27, lwStartMfmaIndex:61, lwEndMfmaIndex:88  */
/*  numMfmaForLR:4, barrierMfmaIndex:91 */
/*  mfmaIndex:12  */
/* localReadsVacancy: latencyLeft 5 */
_ds_load_b32 v[vgprValuB_X4_I0+0], v[vgprLocalReadAddrB] offset:64 // L -> Reg lro=16 swapByteOffset=0 ti=64 vIdx=0 rIdx=0 oIdx=0 buffer=4 iui=0
_ds_load_b32 v[vgprValuA_X4_I0+1], v[vgprLocalReadAddrA] offset:7296 // L -> Reg lro=1792 swapByteOffset=0 ti=32 vIdx=1 rIdx=0 oIdx=0 buffer=4 iui=0
_buffer_load_b32 v[vgprG2LB+0], v[vgprGlobalReadOffsetB+0], s[sgprSrdB:sgprSrdB+3], 0, offen offset:0 // G -> Reg 0_0_0_0
s_waitcnt lgkmcnt(15)                              // lgkmcnt=0 vmcnt=-1wait for prior local read local write old=7, new=7 newLW=0 newLR=0
v_mfma_f32_16x16x4_f32 a[0+0:3+0], v[vgprValuA_X1_I0+0+0+0], v[vgprValuB_X1_I0+0+0+0], a[0:3]
/*  mfmaIndex:13  */
/* localReadsVacancy: latencyLeft 5 */
_ds_load_b32 v[vgprValuA_X4_I0+2], v[vgprLocalReadAddrA] offset:7424 // L -> Reg lro=1792 swapByteOffset=0 ti=32 vIdx=2 rIdx=0 oIdx=0 buffer=4 iui=0
_ds_load_b32 v[vgprValuB_X4_I0+1], v[vgprLocalReadAddrB] offset:192 // L -> Reg lro=16 swapByteOffset=0 ti=64 vIdx=0 rIdx=0 oIdx=0 buffer=4 iui=0
_buffer_load_b32 v[vgprG2LB+1], v[vgprGlobalReadOffsetB+0], s[sgprSrdB:sgprSrdB+3], s[sgprScalarGlobalReadOffsetB+0], offen offset:0 // G -> Reg 0_0_1_0
v_mfma_f32_16x16x4_f32 a[4+0:7+0], v[vgprValuA_X1_I0+1+0+0], v[vgprValuB_X1_I0+0+0+0], a[4:7]
/*  mfmaIndex:14  */
/* localReadsVacancy: latencyLeft 5 */
_ds_load_b32 v[vgprValuB_X4_I0+2], v[vgprLocalReadAddrB] offset:8512 // L -> Reg lro=16 swapByteOffset=0 ti=64 vIdx=1 rIdx=0 oIdx=0 buffer=4 iui=0
_ds_load_b32 v[vgprValuB_X4_I0+3], v[vgprLocalReadAddrB] offset:8640 // L -> Reg lro=16 swapByteOffset=0 ti=64 vIdx=1 rIdx=0 oIdx=0 buffer=4 iui=0
_buffer_load_b32 v[vgprG2LB+2], v[vgprGlobalReadOffsetB+0], s[sgprSrdB:sgprSrdB+3], s[sgprScalarGlobalReadOffsetB+1], offen offset:0 // G -> Reg 0_0_2_0
v_mfma_f32_16x16x4_f32 a[8+0:11+0], v[vgprValuA_X1_I0+2+0+0], v[vgprValuB_X1_I0+0+0+0], a[8:11]
/*  mfmaIndex:15  */
/* localReadsVacancy: latencyLeft 5 */
_ds_load_b32 v[vgprValuA_X5_I0+0], v[vgprLocalReadAddrA] offset:8960 // L -> Reg lro=2240 swapByteOffset=0 ti=32 vIdx=0 rIdx=0 oIdx=0 buffer=5 iui=0
_ds_load_b32 v[vgprValuB_X5_I0+0], v[vgprLocalReadAddrB] offset:80 // L -> Reg lro=20 swapByteOffset=0 ti=64 vIdx=0 rIdx=0 oIdx=0 buffer=5 iui=0
_buffer_load_b32 v[vgprG2LB+3], v[vgprGlobalReadOffsetB+0], s[sgprSrdB:sgprSrdB+3], s[sgprScalarGlobalReadOffsetB+2], offen offset:0 // G -> Reg 0_0_3_0
v_mfma_f32_16x16x4_f32 a[20+0:23+0], v[vgprValuA_X1_I0+2+0+0], v[vgprValuB_X1_I0+1+0+0], a[20:23]
/*  mfmaIndex:16  */
/* localReadsVacancy: latencyLeft 5 */
_ds_load_b32 v[vgprValuA_X5_I0+1], v[vgprLocalReadAddrA] offset:9088 // L -> Reg lro=2240 swapByteOffset=0 ti=32 vIdx=1 rIdx=0 oIdx=0 buffer=5 iui=0
_ds_load_b32 v[vgprValuA_X5_I0+2], v[vgprLocalReadAddrA] offset:9216 // L -> Reg lro=2240 swapByteOffset=0 ti=32 vIdx=2 rIdx=0 oIdx=0 buffer=5 iui=0
_buffer_load_b32 v[vgprG2LB+4], v[vgprGlobalReadOffsetB+0], s[sgprSrdB:sgprSrdB+3], s[sgprScalarGlobalReadOffsetB+3], offen offset:0 // G -> Reg 0_0_4_0
v_mfma_f32_16x16x4_f32 a[16+0:19+0], v[vgprValuA_X1_I0+1+0+0], v[vgprValuB_X1_I0+1+0+0], a[16:19]
/*  mfmaIndex:17  */
/* localReadsVacancy: latencyLeft 5 */
_ds_load_b32 v[vgprValuB_X5_I0+1], v[vgprLocalReadAddrB] offset:208 // L -> Reg lro=20 swapByteOffset=0 ti=64 vIdx=0 rIdx=0 oIdx=0 buffer=5 iui=0
_ds_load_b32 v[vgprValuB_X5_I0+2], v[vgprLocalReadAddrB] offset:8528 // L -> Reg lro=20 swapByteOffset=0 ti=64 vIdx=1 rIdx=0 oIdx=0 buffer=5 iui=0
_buffer_load_b32 v[vgprG2LB+5], v[vgprGlobalReadOffsetB+0], s[sgprSrdB:sgprSrdB+3], s[sgprScalarGlobalReadOffsetB+4], offen offset:0 // G -> Reg 0_0_5_0
v_mfma_f32_16x16x4_f32 a[12+0:15+0], v[vgprValuA_X1_I0+0+0+0], v[vgprValuB_X1_I0+1+0+0], a[12:15]
/*  mfmaIndex:18  */
/* localReadsVacancy: latencyLeft 5 */
_ds_load_b32 v[vgprValuB_X5_I0+3], v[vgprLocalReadAddrB] offset:8656 // L -> Reg lro=20 swapByteOffset=0 ti=64 vIdx=1 rIdx=0 oIdx=0 buffer=5 iui=0
_ds_load_b32 v[vgprValuA_X6_I0+0], v[vgprLocalReadAddrA] offset:10752 // L -> Reg lro=2688 swapByteOffset=0 ti=32 vIdx=0 rIdx=0 oIdx=0 buffer=6 iui=0
_buffer_load_b32 v[vgprG2LB+6], v[vgprGlobalReadOffsetB+0], s[sgprSrdB:sgprSrdB+3], s[sgprScalarGlobalReadOffsetB+5], offen offset:0 // G -> Reg 0_0_6_0
v_mfma_f32_16x16x4_f32 a[24+0:27+0], v[vgprValuA_X1_I0+0+0+0], v[vgprValuB_X1_I0+2+0+0], a[24:27]
/*  mfmaIndex:19  */
/* localReadsVacancy: latencyLeft 5 */
_ds_load_b32 v[vgprValuB_X6_I0+0], v[vgprLocalReadAddrB] offset:96 // L -> Reg lro=24 swapByteOffset=0 ti=64 vIdx=0 rIdx=0 oIdx=0 buffer=6 iui=0
_ds_load_b32 v[vgprValuA_X6_I0+1], v[vgprLocalReadAddrA] offset:10880 // L -> Reg lro=2688 swapByteOffset=0 ti=32 vIdx=1 rIdx=0 oIdx=0 buffer=6 iui=0
_buffer_load_b32 v[vgprG2LB+7], v[vgprGlobalReadOffsetB+0], s[sgprSrdB:sgprSrdB+3], s[sgprScalarGlobalReadOffsetB+6], offen offset:0 // G -> Reg 0_0_7_0
v_mfma_f32_16x16x4_f32 a[28+0:31+0], v[vgprValuA_X1_I0+1+0+0], v[vgprValuB_X1_I0+2+0+0], a[28:31]
/*  mfmaIndex:20  */
/* localReadsVacancy: latencyLeft 5 */
_ds_load_b32 v[vgprValuA_X6_I0+2], v[vgprLocalReadAddrA] offset:11008 // L -> Reg lro=2688 swapByteOffset=0 ti=32 vIdx=2 rIdx=0 oIdx=0 buffer=6 iui=0
_ds_load_b32 v[vgprValuB_X6_I0+1], v[vgprLocalReadAddrB] offset:224 // L -> Reg lro=24 swapByteOffset=0 ti=64 vIdx=0 rIdx=0 oIdx=0 buffer=6 iui=0
_buffer_load_b32 v[vgprG2LB+8], v[vgprGlobalReadOffsetB+0], s[sgprSrdB:sgprSrdB+3], s[sgprScalarGlobalReadOffsetB+7], offen offset:0 // G -> Reg 0_0_8_0
v_mfma_f32_16x16x4_f32 a[32+0:35+0], v[vgprValuA_X1_I0+2+0+0], v[vgprValuB_X1_I0+2+0+0], a[32:35]
/*  mfmaIndex:21  */
/* localReadsVacancy: latencyLeft 5 */
_ds_load_b32 v[vgprValuB_X6_I0+2], v[vgprLocalReadAddrB] offset:8544 // L -> Reg lro=24 swapByteOffset=0 ti=64 vIdx=1 rIdx=0 oIdx=0 buffer=6 iui=0
_ds_load_b32 v[vgprValuB_X6_I0+3], v[vgprLocalReadAddrB] offset:8672 // L -> Reg lro=24 swapByteOffset=0 ti=64 vIdx=1 rIdx=0 oIdx=0 buffer=6 iui=0
_buffer_load_b32 v[vgprG2LB+9], v[vgprGlobalReadOffsetB+0], s[sgprSrdB:sgprSrdB+3], s[sgprScalarGlobalReadOffsetB+8], offen offset:0 // G -> Reg 0_0_9_0
v_mfma_f32_16x16x4_f32 a[44+0:47+0], v[vgprValuA_X1_I0+2+0+0], v[vgprValuB_X1_I0+3+0+0], a[44:47]
/*  mfmaIndex:22  */
/* localReadsVacancy: latencyLeft 5 */
_ds_load_b32 v[vgprValuA_X7_I0+0], v[vgprLocalReadAddrA] offset:12544 // L -> Reg lro=3136 swapByteOffset=0 ti=32 vIdx=0 rIdx=0 oIdx=0 buffer=7 iui=0
_ds_load_b32 v[vgprValuB_X7_I0+0], v[vgprLocalReadAddrB] offset:112 // L -> Reg lro=28 swapByteOffset=0 ti=64 vIdx=0 rIdx=0 oIdx=0 buffer=7 iui=0
_buffer_load_b32 v[vgprG2LB+10], v[vgprGlobalReadOffsetB+0], s[sgprSrdB:sgprSrdB+3], s[sgprScalarGlobalReadOffsetB+9], offen offset:0 // G -> Reg 0_0_10_0
v_mfma_f32_16x16x4_f32 a[40+0:43+0], v[vgprValuA_X1_I0+1+0+0], v[vgprValuB_X1_I0+3+0+0], a[40:43]
/*  mfmaIndex:23  */
/* localReadsVacancy: latencyLeft 5 */
_ds_load_b32 v[vgprValuA_X7_I0+1], v[vgprLocalReadAddrA] offset:12672 // L -> Reg lro=3136 swapByteOffset=0 ti=32 vIdx=1 rIdx=0 oIdx=0 buffer=7 iui=0
_ds_load_b32 v[vgprValuA_X7_I0+2], v[vgprLocalReadAddrA] offset:12800 // L -> Reg lro=3136 swapByteOffset=0 ti=32 vIdx=2 rIdx=0 oIdx=0 buffer=7 iui=0
_buffer_load_b32 v[vgprG2LB+11], v[vgprGlobalReadOffsetB+0], s[sgprSrdB:sgprSrdB+3], s[sgprScalarGlobalReadOffsetB+10], offen offset:0 // G -> Reg 0_0_11_0
v_mfma_f32_16x16x4_f32 a[36+0:39+0], v[vgprValuA_X1_I0+0+0+0], v[vgprValuB_X1_I0+3+0+0], a[36:39]
/* numPrefetchIter=0 */
/* dataAtIterA=0 numReadsIterA=2 skipReadsIterA=1 readsPerIterA=3 */
/* dataAtIterB=0 numReadsIterB=2 skipReadsIterB=1 readsPerIterB=4 */


/* iter 2 */

/*  grEndMfmaIndex:27, lwStartMfmaIndex:61, lwEndMfmaIndex:88  */
/*  numMfmaForLR:4, barrierMfmaIndex:91 */
/*  mfmaIndex:24  */
/* localReadsVacancy: latencyLeft 5 */
_ds_load_b32 v[vgprValuB_X7_I0+1], v[vgprLocalReadAddrB] offset:240 // L -> Reg lro=28 swapByteOffset=0 ti=64 vIdx=0 rIdx=0 oIdx=0 buffer=7 iui=0
_ds_load_b32 v[vgprValuB_X7_I0+2], v[vgprLocalReadAddrB] offset:8560 // L -> Reg lro=28 swapByteOffset=0 ti=64 vIdx=1 rIdx=0 oIdx=0 buffer=7 iui=0
_buffer_load_b32 v[vgprG2LB+12], v[vgprGlobalReadOffsetB+0], s[sgprSrdB:sgprSrdB+3], s[sgprScalarGlobalReadOffsetB+11], offen offset:0 // G -> Reg 0_0_12_0
s_waitcnt lgkmcnt(15)                              // lgkmcnt=0 vmcnt=-1wait for prior local read local write old=0, new=0 newLW=0 newLR=0
v_mfma_f32_16x16x4_f32 a[0+0:3+0], v[vgprValuA_X2_I0+0+0+0], v[vgprValuB_X2_I0+0+0+0], a[0:3]
/*  mfmaIndex:25  */
/* localReadsVacancy: latencyLeft 5 */
_ds_load_b32 v[vgprValuB_X7_I0+3], v[vgprLocalReadAddrB] offset:8688 // L -> Reg lro=28 swapByteOffset=0 ti=64 vIdx=1 rIdx=0 oIdx=0 buffer=7 iui=0
_buffer_load_b32 v[vgprG2LB+13], v[vgprGlobalReadOffsetB+0], s[sgprSrdB:sgprSrdB+3], s[sgprScalarGlobalReadOffsetB+12], offen offset:0 // G -> Reg 0_0_13_0
v_mfma_f32_16x16x4_f32 a[4+0:7+0], v[vgprValuA_X2_I0+1+0+0], v[vgprValuB_X2_I0+0+0+0], a[4:7]
/*  mfmaIndex:26  */
/* localReadsVacancy: latencyLeft 5 */
_buffer_load_b32 v[vgprG2LB+14], v[vgprGlobalReadOffsetB+0], s[sgprSrdB:sgprSrdB+3], s[sgprScalarGlobalReadOffsetB+13], offen offset:0 // G -> Reg 0_0_14_0
v_mfma_f32_16x16x4_f32 a[8+0:11+0], v[vgprValuA_X2_I0+2+0+0], v[vgprValuB_X2_I0+0+0+0], a[8:11]
/*  mfmaIndex:27  */
/* localReadsVacancy: latencyLeft 5 */
_buffer_load_b32 v[vgprG2LB+15], v[vgprGlobalReadOffsetB+0], s[sgprSrdB:sgprSrdB+3], s[sgprScalarGlobalReadOffsetB+14], offen offset:0 // G -> Reg 0_0_15_0
v_mfma_f32_16x16x4_f32 a[20+0:23+0], v[vgprValuA_X2_I0+2+0+0], v[vgprValuB_X2_I0+1+0+0], a[20:23]
/*  mfmaIndex:28  */
/* localReadsVacancy: latencyLeft 5 */

/* global read inc A loopL */
s_cmp_eq_u32 s[sgprLoopCounterL], s[sgprStaggerUIter] // Is this the wrapIter?
s_cselect_b32 s84, s[sgprWrapUA+0], s[sgprGlobalReadIncsA+0] // incLower <- ?
s_cselect_b32 s85, s[sgprWrapUA+1], 0              // incUpper <- ?
v_mfma_f32_16x16x4_f32 a[16+0:19+0], v[vgprValuA_X2_I0+1+0+0], v[vgprValuB_X2_I0+1+0+0], a[16:19]
/*  mfmaIndex:29  */
/* localReadsVacancy: latencyLeft 5 */
s_add_u32 s[sgprSrdA+0], s[sgprSrdA+0], s84        // gra SRD += inc(lower)
s_addc_u32  s[sgprSrdA+1], s[sgprSrdA+1], s85      // gra SRD += inc(upper)
s_sub_u32 s[sgprShadowLimitA+0], s[sgprShadowLimitA+0], s84 // limit -= inc)
v_mfma_f32_16x16x4_f32 a[12+0:15+0], v[vgprValuA_X2_I0+0+0+0], v[vgprValuB_X2_I0+1+0+0], a[12:15]
/*  mfmaIndex:30  */
/* localReadsVacancy: latencyLeft 5 */
s_subb_u32 s[sgprShadowLimitA+1], s[sgprShadowLimitA+1], s85 // limit -= inc)
s_cmp_eq_u32 s[sgprShadowLimitA+1], 0              // are we within 2^32?
s_cselect_b32 s[sgprSrdA+2], s[sgprShadowLimitA+0], BufferLimitA // Move shadow to real if we are within 2^32
v_mfma_f32_16x16x4_f32 a[24+0:27+0], v[vgprValuA_X2_I0+0+0+0], v[vgprValuB_X2_I0+2+0+0], a[24:27]
/*  mfmaIndex:31  */
/* localReadsVacancy: latencyLeft 5 */

/* global read inc B loopL */
s_cmp_eq_u32 s[sgprLoopCounterL], s[sgprStaggerUIter] // Is this the wrapIter?
s_cselect_b32 s84, s[sgprWrapUB+0], s[sgprGlobalReadIncsB+0] // incLower <- ?
s_cselect_b32 s85, s[sgprWrapUB+1], 0              // incUpper <- ?
v_mfma_f32_16x16x4_f32 a[28+0:31+0], v[vgprValuA_X2_I0+1+0+0], v[vgprValuB_X2_I0+2+0+0], a[28:31]
/*  mfmaIndex:32  */
/* localReadsVacancy: latencyLeft 5 */
s_add_u32 s[sgprSrdB+0], s[sgprSrdB+0], s84        // gra SRD += inc(lower)
s_addc_u32  s[sgprSrdB+1], s[sgprSrdB+1], s85      // gra SRD += inc(upper)
s_sub_u32 s[sgprShadowLimitB+0], s[sgprShadowLimitB+0], s84 // limit -= inc)
v_mfma_f32_16x16x4_f32 a[32+0:35+0], v[vgprValuA_X2_I0+2+0+0], v[vgprValuB_X2_I0+2+0+0], a[32:35]
/*  mfmaIndex:33  */
/* localReadsVacancy: latencyLeft 5 */
s_subb_u32 s[sgprShadowLimitB+1], s[sgprShadowLimitB+1], s85 // limit -= inc)
s_cmp_eq_u32 s[sgprShadowLimitB+1], 0              // are we within 2^32?
s_cselect_b32 s[sgprSrdB+2], s[sgprShadowLimitB+0], BufferLimitB // Move shadow to real if we are within 2^32
v_mfma_f32_16x16x4_f32 a[44+0:47+0], v[vgprValuA_X2_I0+2+0+0], v[vgprValuB_X2_I0+3+0+0], a[44:47]
/*  mfmaIndex:34  */
/* localReadsVacancy: latencyLeft 5 */
v_mfma_f32_16x16x4_f32 a[40+0:43+0], v[vgprValuA_X2_I0+1+0+0], v[vgprValuB_X2_I0+3+0+0], a[40:43]
/*  mfmaIndex:35  */
/* localReadsVacancy: latencyLeft 5 */
v_mfma_f32_16x16x4_f32 a[36+0:39+0], v[vgprValuA_X2_I0+0+0+0], v[vgprValuB_X2_I0+3+0+0], a[36:39]
/* numPrefetchIter=0 */
/* dataAtIterA=1 numReadsIterA=3 skipReadsIterA=1 readsPerIterA=3 */
/* dataAtIterB=1 numReadsIterB=3 skipReadsIterB=1 readsPerIterB=4 */


/* iter 3 */

/*  grEndMfmaIndex:27, lwStartMfmaIndex:61, lwEndMfmaIndex:88  */
/*  numMfmaForLR:4, barrierMfmaIndex:91 */
/*  mfmaIndex:36  */
/* localReadsVacancy: latencyLeft 5 */
s_waitcnt lgkmcnt(15)                              // lgkmcnt=0 vmcnt=-1wait for prior local read local write old=6, new=6 newLW=0 newLR=0
v_mfma_f32_16x16x4_f32 a[0+0:3+0], v[vgprValuA_X3_I0+0+0+0], v[vgprValuB_X3_I0+0+0+0], a[0:3]
/*  mfmaIndex:37  */
/* localReadsVacancy: latencyLeft 5 */
v_mfma_f32_16x16x4_f32 a[4+0:7+0], v[vgprValuA_X3_I0+1+0+0], v[vgprValuB_X3_I0+0+0+0], a[4:7]
/*  mfmaIndex:38  */
/* localReadsVacancy: latencyLeft 5 */
	;; [unrolled: 3-line block ×11, first 2 shown]
v_mfma_f32_16x16x4_f32 a[36+0:39+0], v[vgprValuA_X3_I0+0+0+0], v[vgprValuB_X3_I0+3+0+0], a[36:39]
/* numPrefetchIter=0 */
/* dataAtIterA=2 numReadsIterA=4 skipReadsIterA=1 readsPerIterA=3 */
/* dataAtIterB=2 numReadsIterB=4 skipReadsIterB=1 readsPerIterB=4 */


/* iter 4 */

/*  grEndMfmaIndex:27, lwStartMfmaIndex:61, lwEndMfmaIndex:88  */
/*  numMfmaForLR:4, barrierMfmaIndex:91 */
/*  mfmaIndex:48  */
/* localReadsVacancy: latencyLeft 5 */
s_waitcnt lgkmcnt(15)                              // lgkmcnt=0 vmcnt=-1wait for prior local read local write old=7, new=7 newLW=0 newLR=0
v_mfma_f32_16x16x4_f32 a[0+0:3+0], v[vgprValuA_X4_I0+0+0+0], v[vgprValuB_X4_I0+0+0+0], a[0:3]
/*  mfmaIndex:49  */
/* localReadsVacancy: latencyLeft 5 */
v_mfma_f32_16x16x4_f32 a[4+0:7+0], v[vgprValuA_X4_I0+1+0+0], v[vgprValuB_X4_I0+0+0+0], a[4:7]
/*  mfmaIndex:50  */
/* localReadsVacancy: latencyLeft 5 */
	;; [unrolled: 3-line block ×11, first 2 shown]
v_mfma_f32_16x16x4_f32 a[36+0:39+0], v[vgprValuA_X4_I0+0+0+0], v[vgprValuB_X4_I0+3+0+0], a[36:39]
/* numPrefetchIter=0 */
/* dataAtIterA=3 numReadsIterA=5 skipReadsIterA=1 readsPerIterA=3 */
/* dataAtIterB=3 numReadsIterB=5 skipReadsIterB=1 readsPerIterB=4 */


/* iter 5 */

/*  grEndMfmaIndex:27, lwStartMfmaIndex:61, lwEndMfmaIndex:88  */
/*  numMfmaForLR:4, barrierMfmaIndex:91 */
/*  mfmaIndex:60  */
/* localReadsVacancy: latencyLeft 5 */
/* 1 LDS buffer: read-sync-write */
s_waitcnt lgkmcnt(0)                               // 
s_barrier                                          // 
s_waitcnt lgkmcnt(14)                              // lgkmcnt=0 vmcnt=-1wait for prior local read local write old=7, new=7 newLW=0 newLR=0
v_mfma_f32_16x16x4_f32 a[0+0:3+0], v[vgprValuA_X5_I0+0+0+0], v[vgprValuB_X5_I0+0+0+0], a[0:3]
/*  mfmaIndex:61  */
/* localReadsVacancy: latencyLeft 1 */
/* sched write - iter 5 writesPerItem=1 */
s_waitcnt vmcnt(0)                                 // lgkmcnt=-1 vmcnt=0wait for global read before writing to local
_ds_store_b32 v[vgprLocalWriteAddrA], v[vgprG2LA+0] offset:0 // lwoA_0_0_0_0 = (0*LSCA) + (0*LSPA)(*MT0I+PAD) = 0
v_mfma_f32_16x16x4_f32 a[4+0:7+0], v[vgprValuA_X5_I0+1+0+0], v[vgprValuB_X5_I0+0+0+0], a[4:7]
/*  mfmaIndex:62  */
/* sched write - iter 5 writesPerItem=1 */
s_waitcnt vmcnt(0)                                 // lgkmcnt=-1 vmcnt=0wait for global read before writing to local
_ds_store_b32 v[vgprLocalWriteAddrA], v[vgprG2LA+1] offset:128 // lwoA_1_0_0_0 = (1*LSCA) + (0*LSPA)(*MT0I+PAD) = 128
v_mfma_f32_16x16x4_f32 a[8+0:11+0], v[vgprValuA_X5_I0+2+0+0], v[vgprValuB_X5_I0+0+0+0], a[8:11]
/*  mfmaIndex:63  */
/* sched write - iter 5 writesPerItem=1 */
s_waitcnt vmcnt(0)                                 // lgkmcnt=-1 vmcnt=0wait for global read before writing to local
_ds_store_b32 v[vgprLocalWriteAddrA], v[vgprG2LA+2] offset:256 // lwoA_2_0_0_0 = (2*LSCA) + (0*LSPA)(*MT0I+PAD) = 256
v_mfma_f32_16x16x4_f32 a[20+0:23+0], v[vgprValuA_X5_I0+2+0+0], v[vgprValuB_X5_I0+1+0+0], a[20:23]
/*  mfmaIndex:64  */
/* sched write - iter 5 writesPerItem=1 */
s_waitcnt vmcnt(0)                                 // lgkmcnt=-1 vmcnt=0wait for global read before writing to local
_ds_store_b32 v[vgprLocalWriteAddrA], v[vgprG2LA+3] offset:3584 // lwoA_0_0_1_0 = (0*LSCA) + (1*LSPA)(*MT0I+PAD) = 3584
v_mfma_f32_16x16x4_f32 a[16+0:19+0], v[vgprValuA_X5_I0+1+0+0], v[vgprValuB_X5_I0+1+0+0], a[16:19]
/*  mfmaIndex:65  */
/* sched write - iter 5 writesPerItem=1 */
s_waitcnt vmcnt(0)                                 // lgkmcnt=-1 vmcnt=0wait for global read before writing to local
_ds_store_b32 v[vgprLocalWriteAddrA], v[vgprG2LA+4] offset:3712 // lwoA_1_0_1_0 = (1*LSCA) + (1*LSPA)(*MT0I+PAD) = 3712
v_mfma_f32_16x16x4_f32 a[12+0:15+0], v[vgprValuA_X5_I0+0+0+0], v[vgprValuB_X5_I0+1+0+0], a[12:15]
/*  mfmaIndex:66  */
/* sched write - iter 5 writesPerItem=1 */
s_waitcnt vmcnt(0)                                 // lgkmcnt=-1 vmcnt=0wait for global read before writing to local
_ds_store_b32 v[vgprLocalWriteAddrA], v[vgprG2LA+5] offset:3840 // lwoA_2_0_1_0 = (2*LSCA) + (1*LSPA)(*MT0I+PAD) = 3840
v_mfma_f32_16x16x4_f32 a[24+0:27+0], v[vgprValuA_X5_I0+0+0+0], v[vgprValuB_X5_I0+2+0+0], a[24:27]
/*  mfmaIndex:67  */
/* sched write - iter 5 writesPerItem=1 */
s_waitcnt vmcnt(0)                                 // lgkmcnt=-1 vmcnt=0wait for global read before writing to local
_ds_store_b32 v[vgprLocalWriteAddrA], v[vgprG2LA+6] offset:7168 // lwoA_0_0_2_0 = (0*LSCA) + (2*LSPA)(*MT0I+PAD) = 7168
v_mfma_f32_16x16x4_f32 a[28+0:31+0], v[vgprValuA_X5_I0+1+0+0], v[vgprValuB_X5_I0+2+0+0], a[28:31]
/*  mfmaIndex:68  */
/* sched write - iter 5 writesPerItem=1 */
s_waitcnt vmcnt(0)                                 // lgkmcnt=-1 vmcnt=0wait for global read before writing to local
_ds_store_b32 v[vgprLocalWriteAddrA], v[vgprG2LA+7] offset:7296 // lwoA_1_0_2_0 = (1*LSCA) + (2*LSPA)(*MT0I+PAD) = 7296
v_mfma_f32_16x16x4_f32 a[32+0:35+0], v[vgprValuA_X5_I0+2+0+0], v[vgprValuB_X5_I0+2+0+0], a[32:35]
/*  mfmaIndex:69  */
/* sched write - iter 5 writesPerItem=1 */
s_waitcnt vmcnt(0)                                 // lgkmcnt=-1 vmcnt=0wait for global read before writing to local
_ds_store_b32 v[vgprLocalWriteAddrA], v[vgprG2LA+8] offset:7424 // lwoA_2_0_2_0 = (2*LSCA) + (2*LSPA)(*MT0I+PAD) = 7424
v_mfma_f32_16x16x4_f32 a[44+0:47+0], v[vgprValuA_X5_I0+2+0+0], v[vgprValuB_X5_I0+3+0+0], a[44:47]
/*  mfmaIndex:70  */
/* sched write - iter 5 writesPerItem=1 */
s_waitcnt vmcnt(0)                                 // lgkmcnt=-1 vmcnt=0wait for global read before writing to local
_ds_store_b32 v[vgprLocalWriteAddrA], v[vgprG2LA+9] offset:10752 // lwoA_0_0_3_0 = (0*LSCA) + (3*LSPA)(*MT0I+PAD) = 10752
v_mfma_f32_16x16x4_f32 a[40+0:43+0], v[vgprValuA_X5_I0+1+0+0], v[vgprValuB_X5_I0+3+0+0], a[40:43]
/*  mfmaIndex:71  */
/* sched write - iter 5 writesPerItem=1 */
s_waitcnt vmcnt(0)                                 // lgkmcnt=-1 vmcnt=0wait for global read before writing to local
_ds_store_b32 v[vgprLocalWriteAddrA], v[vgprG2LA+10] offset:10880 // lwoA_1_0_3_0 = (1*LSCA) + (3*LSPA)(*MT0I+PAD) = 10880
v_mfma_f32_16x16x4_f32 a[36+0:39+0], v[vgprValuA_X5_I0+0+0+0], v[vgprValuB_X5_I0+3+0+0], a[36:39]
/* numPrefetchIter=0 */
/* dataAtIterA=4 numReadsIterA=6 skipReadsIterA=1 readsPerIterA=3 */
/* dataAtIterB=4 numReadsIterB=6 skipReadsIterB=1 readsPerIterB=4 */


/* iter 6 (reset local read pointers iteration)  (swap local read pointers iteration)  */

/*  grEndMfmaIndex:27, lwStartMfmaIndex:61, lwEndMfmaIndex:88  */
/*  numMfmaForLR:4, barrierMfmaIndex:91 */
/*  mfmaIndex:72  */
/* sched write - iter 6 writesPerItem=1 */
s_waitcnt vmcnt(0)                                 // lgkmcnt=-1 vmcnt=0wait for global read before writing to local
_ds_store_b32 v[vgprLocalWriteAddrA], v[vgprG2LA+11] offset:11008 // lwoA_2_0_3_0 = (2*LSCA) + (3*LSPA)(*MT0I+PAD) = 11008
v_mfma_f32_16x16x4_f32 a[0+0:3+0], v[vgprValuA_X6_I0+0+0+0], v[vgprValuB_X6_I0+0+0+0], a[0:3]
/*  mfmaIndex:73  */
/* sched write - iter 6 writesPerItem=1 */
s_waitcnt vmcnt(0)                                 // lgkmcnt=-1 vmcnt=0wait for global read before writing to local
_ds_store_b32 v[vgprLocalWriteAddrB], v[vgprG2LB+0] offset:0 // lwoB_0_0_0_0 = (0*LSCB)*(MT1J+PAD) + (0*LSPB) = 0
v_mfma_f32_16x16x4_f32 a[4+0:7+0], v[vgprValuA_X6_I0+1+0+0], v[vgprValuB_X6_I0+0+0+0], a[4:7]
/*  mfmaIndex:74  */
/* sched write - iter 6 writesPerItem=1 */
s_waitcnt vmcnt(0)                                 // lgkmcnt=-1 vmcnt=0wait for global read before writing to local
_ds_store_b32 v[vgprLocalWriteAddrB], v[vgprG2LB+1] offset:1056 // lwoB_0_0_1_0 = (0*LSCB)*(MT1J+PAD) + (1*LSPB) = 1056
v_mfma_f32_16x16x4_f32 a[8+0:11+0], v[vgprValuA_X6_I0+2+0+0], v[vgprValuB_X6_I0+0+0+0], a[8:11]
/*  mfmaIndex:75  */
/* sched write - iter 6 writesPerItem=1 */
s_waitcnt vmcnt(0)                                 // lgkmcnt=-1 vmcnt=0wait for global read before writing to local
_ds_store_b32 v[vgprLocalWriteAddrB], v[vgprG2LB+2] offset:2112 // lwoB_0_0_2_0 = (0*LSCB)*(MT1J+PAD) + (2*LSPB) = 2112
v_mfma_f32_16x16x4_f32 a[20+0:23+0], v[vgprValuA_X6_I0+2+0+0], v[vgprValuB_X6_I0+1+0+0], a[20:23]
/*  mfmaIndex:76  */
/* sched write - iter 6 writesPerItem=1 */
s_waitcnt vmcnt(0)                                 // lgkmcnt=-1 vmcnt=0wait for global read before writing to local
_ds_store_b32 v[vgprLocalWriteAddrB], v[vgprG2LB+3] offset:3168 // lwoB_0_0_3_0 = (0*LSCB)*(MT1J+PAD) + (3*LSPB) = 3168
v_mfma_f32_16x16x4_f32 a[16+0:19+0], v[vgprValuA_X6_I0+1+0+0], v[vgprValuB_X6_I0+1+0+0], a[16:19]
/*  mfmaIndex:77  */
/* sched write - iter 6 writesPerItem=1 */
s_waitcnt vmcnt(0)                                 // lgkmcnt=-1 vmcnt=0wait for global read before writing to local
_ds_store_b32 v[vgprLocalWriteAddrB], v[vgprG2LB+4] offset:4224 // lwoB_0_0_4_0 = (0*LSCB)*(MT1J+PAD) + (4*LSPB) = 4224
v_mfma_f32_16x16x4_f32 a[12+0:15+0], v[vgprValuA_X6_I0+0+0+0], v[vgprValuB_X6_I0+1+0+0], a[12:15]
/*  mfmaIndex:78  */
/* sched write - iter 6 writesPerItem=1 */
s_waitcnt vmcnt(0)                                 // lgkmcnt=-1 vmcnt=0wait for global read before writing to local
_ds_store_b32 v[vgprLocalWriteAddrB], v[vgprG2LB+5] offset:5280 // lwoB_0_0_5_0 = (0*LSCB)*(MT1J+PAD) + (5*LSPB) = 5280
v_mfma_f32_16x16x4_f32 a[24+0:27+0], v[vgprValuA_X6_I0+0+0+0], v[vgprValuB_X6_I0+2+0+0], a[24:27]
/*  mfmaIndex:79  */
/* sched write - iter 6 writesPerItem=1 */
s_waitcnt vmcnt(0)                                 // lgkmcnt=-1 vmcnt=0wait for global read before writing to local
_ds_store_b32 v[vgprLocalWriteAddrB], v[vgprG2LB+6] offset:6336 // lwoB_0_0_6_0 = (0*LSCB)*(MT1J+PAD) + (6*LSPB) = 6336
v_mfma_f32_16x16x4_f32 a[28+0:31+0], v[vgprValuA_X6_I0+1+0+0], v[vgprValuB_X6_I0+2+0+0], a[28:31]
/*  mfmaIndex:80  */
/* sched write - iter 6 writesPerItem=1 */
s_waitcnt vmcnt(0)                                 // lgkmcnt=-1 vmcnt=0wait for global read before writing to local
_ds_store_b32 v[vgprLocalWriteAddrB], v[vgprG2LB+7] offset:7392 // lwoB_0_0_7_0 = (0*LSCB)*(MT1J+PAD) + (7*LSPB) = 7392
v_mfma_f32_16x16x4_f32 a[32+0:35+0], v[vgprValuA_X6_I0+2+0+0], v[vgprValuB_X6_I0+2+0+0], a[32:35]
/*  mfmaIndex:81  */
/* sched write - iter 6 writesPerItem=1 */
s_waitcnt vmcnt(0)                                 // lgkmcnt=-1 vmcnt=0wait for global read before writing to local
_ds_store_b32 v[vgprLocalWriteAddrB], v[vgprG2LB+8] offset:8448 // lwoB_0_0_8_0 = (0*LSCB)*(MT1J+PAD) + (8*LSPB) = 8448
v_mfma_f32_16x16x4_f32 a[44+0:47+0], v[vgprValuA_X6_I0+2+0+0], v[vgprValuB_X6_I0+3+0+0], a[44:47]
/*  mfmaIndex:82  */
/* sched write - iter 6 writesPerItem=1 */
s_waitcnt vmcnt(0)                                 // lgkmcnt=-1 vmcnt=0wait for global read before writing to local
_ds_store_b32 v[vgprLocalWriteAddrB], v[vgprG2LB+9] offset:9504 // lwoB_0_0_9_0 = (0*LSCB)*(MT1J+PAD) + (9*LSPB) = 9504
v_mfma_f32_16x16x4_f32 a[40+0:43+0], v[vgprValuA_X6_I0+1+0+0], v[vgprValuB_X6_I0+3+0+0], a[40:43]
/*  mfmaIndex:83  */
/* sched write - iter 6 writesPerItem=1 */
s_waitcnt vmcnt(0)                                 // lgkmcnt=-1 vmcnt=0wait for global read before writing to local
_ds_store_b32 v[vgprLocalWriteAddrB], v[vgprG2LB+10] offset:10560 // lwoB_0_0_10_0 = (0*LSCB)*(MT1J+PAD) + (10*LSPB) = 10560

/* local read swap offsets a */

/* local read swap offsets b */

/* local read init pointers a */

/* localReadInitPointers */

/* local read init pointers b */

/* localReadInitPointers */
v_mfma_f32_16x16x4_f32 a[36+0:39+0], v[vgprValuA_X6_I0+0+0+0], v[vgprValuB_X6_I0+3+0+0], a[36:39]


/* iter 7 (swap and reset local write pointers iteration)  */

/*  grEndMfmaIndex:27, lwStartMfmaIndex:61, lwEndMfmaIndex:88  */
/*  numMfmaForLR:4, barrierMfmaIndex:91 */
/*  mfmaIndex:84  */
/* sched write - iter 7 writesPerItem=1 */
s_waitcnt vmcnt(0)                                 // lgkmcnt=-1 vmcnt=0wait for global read before writing to local
_ds_store_b32 v[vgprLocalWriteAddrB], v[vgprG2LB+11] offset:11616 // lwoB_0_0_11_0 = (0*LSCB)*(MT1J+PAD) + (11*LSPB) = 11616
v_mfma_f32_16x16x4_f32 a[0+0:3+0], v[vgprValuA_X7_I0+0+0+0], v[vgprValuB_X7_I0+0+0+0], a[0:3]
/*  mfmaIndex:85  */
/* sched write - iter 7 writesPerItem=1 */
s_waitcnt vmcnt(0)                                 // lgkmcnt=-1 vmcnt=0wait for global read before writing to local
_ds_store_b32 v[vgprLocalWriteAddrB], v[vgprG2LB+12] offset:12672 // lwoB_0_0_12_0 = (0*LSCB)*(MT1J+PAD) + (12*LSPB) = 12672
v_mfma_f32_16x16x4_f32 a[4+0:7+0], v[vgprValuA_X7_I0+1+0+0], v[vgprValuB_X7_I0+0+0+0], a[4:7]
/*  mfmaIndex:86  */
/* sched write - iter 7 writesPerItem=1 */
s_waitcnt vmcnt(0)                                 // lgkmcnt=-1 vmcnt=0wait for global read before writing to local
_ds_store_b32 v[vgprLocalWriteAddrB], v[vgprG2LB+13] offset:13728 // lwoB_0_0_13_0 = (0*LSCB)*(MT1J+PAD) + (13*LSPB) = 13728
v_mfma_f32_16x16x4_f32 a[8+0:11+0], v[vgprValuA_X7_I0+2+0+0], v[vgprValuB_X7_I0+0+0+0], a[8:11]
/*  mfmaIndex:87  */
/* sched write - iter 7 writesPerItem=1 */
s_waitcnt vmcnt(0)                                 // lgkmcnt=-1 vmcnt=0wait for global read before writing to local
_ds_store_b32 v[vgprLocalWriteAddrB], v[vgprG2LB+14] offset:14784 // lwoB_0_0_14_0 = (0*LSCB)*(MT1J+PAD) + (14*LSPB) = 14784
v_mfma_f32_16x16x4_f32 a[20+0:23+0], v[vgprValuA_X7_I0+2+0+0], v[vgprValuB_X7_I0+1+0+0], a[20:23]
/*  mfmaIndex:88  */
/* sched write - iter 7 writesPerItem=1 */
s_waitcnt vmcnt(0)                                 // lgkmcnt=-1 vmcnt=0wait for global read before writing to local
_ds_store_b32 v[vgprLocalWriteAddrB], v[vgprG2LB+15] offset:15840 // lwoB_0_0_15_0 = (0*LSCB)*(MT1J+PAD) + (15*LSPB) = 15840

/* local write swap offsets a */

/* local write swap offsets b */
v_mfma_f32_16x16x4_f32 a[16+0:19+0], v[vgprValuA_X7_I0+1+0+0], v[vgprValuB_X7_I0+1+0+0], a[16:19]
/*  mfmaIndex:89  */
v_mfma_f32_16x16x4_f32 a[12+0:15+0], v[vgprValuA_X7_I0+0+0+0], v[vgprValuB_X7_I0+1+0+0], a[12:15]
/*  mfmaIndex:90  */
	;; [unrolled: 2-line block ×3, first 2 shown]
s_waitcnt lgkmcnt(0)                               // lgkmcnt=0 vmcnt=-13wait for local write
s_waitcnt lgkmcnt(0) & vmcnt(0)                    // force waitcnt0
s_barrier //
v_mfma_f32_16x16x4_f32 a[28+0:31+0], v[vgprValuA_X7_I0+1+0+0], v[vgprValuB_X7_I0+2+0+0], a[28:31]
/*  mfmaIndex:92  */
_ds_load_b32 v[vgprValuA_X0_I0+0], v[vgprLocalReadAddrA] offset:0 // L -> Reg lro=0 swapByteOffset=0 ti=32 vIdx=0 rIdx=0 oIdx=0 buffer=0 iui=0
_ds_load_b32 v[vgprValuB_X0_I0+0], v[vgprLocalReadAddrB] offset:0 // L -> Reg lro=0 swapByteOffset=0 ti=64 vIdx=0 rIdx=0 oIdx=0 buffer=0 iui=0
v_mfma_f32_16x16x4_f32 a[32+0:35+0], v[vgprValuA_X7_I0+2+0+0], v[vgprValuB_X7_I0+2+0+0], a[32:35]
/*  mfmaIndex:93  */
_ds_load_b32 v[vgprValuA_X0_I0+1], v[vgprLocalReadAddrA] offset:128 // L -> Reg lro=0 swapByteOffset=0 ti=32 vIdx=1 rIdx=0 oIdx=0 buffer=0 iui=0
_ds_load_b32 v[vgprValuA_X0_I0+2], v[vgprLocalReadAddrA] offset:256 // L -> Reg lro=0 swapByteOffset=0 ti=32 vIdx=2 rIdx=0 oIdx=0 buffer=0 iui=0
v_mfma_f32_16x16x4_f32 a[44+0:47+0], v[vgprValuA_X7_I0+2+0+0], v[vgprValuB_X7_I0+3+0+0], a[44:47]
/*  mfmaIndex:94  */
_ds_load_b32 v[vgprValuB_X0_I0+1], v[vgprLocalReadAddrB] offset:128 // L -> Reg lro=0 swapByteOffset=0 ti=64 vIdx=0 rIdx=0 oIdx=0 buffer=0 iui=0
_ds_load_b32 v[vgprValuB_X0_I0+2], v[vgprLocalReadAddrB] offset:8448 // L -> Reg lro=0 swapByteOffset=0 ti=64 vIdx=1 rIdx=0 oIdx=0 buffer=0 iui=0
v_mfma_f32_16x16x4_f32 a[40+0:43+0], v[vgprValuA_X7_I0+1+0+0], v[vgprValuB_X7_I0+3+0+0], a[40:43]
/*  mfmaIndex:95  */
_ds_load_b32 v[vgprValuB_X0_I0+3], v[vgprLocalReadAddrB] offset:8576 // L -> Reg lro=0 swapByteOffset=0 ti=64 vIdx=1 rIdx=0 oIdx=0 buffer=0 iui=0
v_mfma_f32_16x16x4_f32 a[36+0:39+0], v[vgprValuA_X7_I0+0+0+0], v[vgprValuB_X7_I0+3+0+0], a[36:39]


/******************************************/
/* Unrolled Loop - End 1/2                */
/******************************************/


/* closeLoop loopL finalLoop=0 tailLoop=0 */
s_sub_u32 s[sgprLoopCounterL], s[sgprLoopCounterL], 1 // dec counterL
s_cmp_eq_i32 s[sgprLoopCounterL], 0x1              // counterL==1
s_cbranch_scc1 LoopEndL_oddexit_3                  // exit LoopL


/******************************************/
/* Unrolled Loop 2/2 - Begin              */
/******************************************/

label_0014: // LoopCopy2 


/* Begin Each Unroll: Check VGPR.checkin for INT8 LW */


	;; [unrolled: 1-line block ×3, first 2 shown]
/* iter 0 */

/*  grEndMfmaIndex:27, lwStartMfmaIndex:61, lwEndMfmaIndex:88  */
/*  numMfmaForLR:4, barrierMfmaIndex:91 */
/*  mfmaIndex:0  */
_buffer_load_b32 v[vgprG2LA+0], v[vgprGlobalReadOffsetA+0], s[sgprSrdA:sgprSrdA+3], 0, offen offset:0 // G -> Reg 0_0_0_0
s_waitcnt lgkmcnt(0)                               // lgkmcnt=0 vmcnt=-1wait for prior local read local write old=0, new=0 newLW=0 newLR=0
v_mfma_f32_16x16x4_f32 a[0+0:3+0], v[vgprValuA_X0_I0+0+0+0], v[vgprValuB_X0_I0+0+0+0], a[0:3]
/*  mfmaIndex:1  */
_ds_load_b32 v[vgprValuA_X1_I0+0], v[vgprLocalReadAddrA] offset:1792 // L -> Reg lro=448 swapByteOffset=0 ti=32 vIdx=0 rIdx=0 oIdx=0 buffer=1 iui=0
_ds_load_b32 v[vgprValuB_X1_I0+0], v[vgprLocalReadAddrB] offset:16 // L -> Reg lro=4 swapByteOffset=0 ti=64 vIdx=0 rIdx=0 oIdx=0 buffer=1 iui=0
_buffer_load_b32 v[vgprG2LA+1], v[vgprGlobalReadOffsetA+0], s[sgprSrdA:sgprSrdA+3], s[sgprScalarGlobalReadOffsetA+0], offen offset:0 // G -> Reg 1_0_0_0
v_mfma_f32_16x16x4_f32 a[4+0:7+0], v[vgprValuA_X0_I0+1+0+0], v[vgprValuB_X0_I0+0+0+0], a[4:7]
/*  mfmaIndex:2  */
_ds_load_b32 v[vgprValuA_X1_I0+1], v[vgprLocalReadAddrA] offset:1920 // L -> Reg lro=448 swapByteOffset=0 ti=32 vIdx=1 rIdx=0 oIdx=0 buffer=1 iui=0
_ds_load_b32 v[vgprValuA_X1_I0+2], v[vgprLocalReadAddrA] offset:2048 // L -> Reg lro=448 swapByteOffset=0 ti=32 vIdx=2 rIdx=0 oIdx=0 buffer=1 iui=0
_buffer_load_b32 v[vgprG2LA+2], v[vgprGlobalReadOffsetA+0], s[sgprSrdA:sgprSrdA+3], s[sgprScalarGlobalReadOffsetA+1], offen offset:0 // G -> Reg 2_0_0_0
v_mfma_f32_16x16x4_f32 a[8+0:11+0], v[vgprValuA_X0_I0+2+0+0], v[vgprValuB_X0_I0+0+0+0], a[8:11]
/*  mfmaIndex:3  */
_ds_load_b32 v[vgprValuB_X1_I0+1], v[vgprLocalReadAddrB] offset:144 // L -> Reg lro=4 swapByteOffset=0 ti=64 vIdx=0 rIdx=0 oIdx=0 buffer=1 iui=0
_ds_load_b32 v[vgprValuB_X1_I0+2], v[vgprLocalReadAddrB] offset:8464 // L -> Reg lro=4 swapByteOffset=0 ti=64 vIdx=1 rIdx=0 oIdx=0 buffer=1 iui=0
_buffer_load_b32 v[vgprG2LA+3], v[vgprGlobalReadOffsetA+0], s[sgprSrdA:sgprSrdA+3], s[sgprScalarGlobalReadOffsetA+2], offen offset:0 // G -> Reg 0_0_1_0
v_mfma_f32_16x16x4_f32 a[20+0:23+0], v[vgprValuA_X0_I0+2+0+0], v[vgprValuB_X0_I0+1+0+0], a[20:23]
/*  mfmaIndex:4  */
_ds_load_b32 v[vgprValuB_X1_I0+3], v[vgprLocalReadAddrB] offset:8592 // L -> Reg lro=4 swapByteOffset=0 ti=64 vIdx=1 rIdx=0 oIdx=0 buffer=1 iui=0
/* localReadsVacancy: latencyLeft 3 */
_ds_load_b32 v[vgprValuA_X2_I0+0], v[vgprLocalReadAddrA] offset:3584 // L -> Reg lro=896 swapByteOffset=0 ti=32 vIdx=0 rIdx=0 oIdx=0 buffer=2 iui=0
_buffer_load_b32 v[vgprG2LA+4], v[vgprGlobalReadOffsetA+0], s[sgprSrdA:sgprSrdA+3], s[sgprScalarGlobalReadOffsetA+3], offen offset:0 // G -> Reg 1_0_1_0
v_mfma_f32_16x16x4_f32 a[16+0:19+0], v[vgprValuA_X0_I0+1+0+0], v[vgprValuB_X0_I0+1+0+0], a[16:19]
/*  mfmaIndex:5  */
/* localReadsVacancy: latencyLeft 5 */
_ds_load_b32 v[vgprValuB_X2_I0+0], v[vgprLocalReadAddrB] offset:32 // L -> Reg lro=8 swapByteOffset=0 ti=64 vIdx=0 rIdx=0 oIdx=0 buffer=2 iui=0
_ds_load_b32 v[vgprValuA_X2_I0+1], v[vgprLocalReadAddrA] offset:3712 // L -> Reg lro=896 swapByteOffset=0 ti=32 vIdx=1 rIdx=0 oIdx=0 buffer=2 iui=0
_buffer_load_b32 v[vgprG2LA+5], v[vgprGlobalReadOffsetA+0], s[sgprSrdA:sgprSrdA+3], s[sgprScalarGlobalReadOffsetA+4], offen offset:0 // G -> Reg 2_0_1_0
v_mfma_f32_16x16x4_f32 a[12+0:15+0], v[vgprValuA_X0_I0+0+0+0], v[vgprValuB_X0_I0+1+0+0], a[12:15]
/*  mfmaIndex:6  */
/* localReadsVacancy: latencyLeft 5 */
_ds_load_b32 v[vgprValuA_X2_I0+2], v[vgprLocalReadAddrA] offset:3840 // L -> Reg lro=896 swapByteOffset=0 ti=32 vIdx=2 rIdx=0 oIdx=0 buffer=2 iui=0
_ds_load_b32 v[vgprValuB_X2_I0+1], v[vgprLocalReadAddrB] offset:160 // L -> Reg lro=8 swapByteOffset=0 ti=64 vIdx=0 rIdx=0 oIdx=0 buffer=2 iui=0
_buffer_load_b32 v[vgprG2LA+6], v[vgprGlobalReadOffsetA+0], s[sgprSrdA:sgprSrdA+3], s[sgprScalarGlobalReadOffsetA+5], offen offset:0 // G -> Reg 0_0_2_0
v_mfma_f32_16x16x4_f32 a[24+0:27+0], v[vgprValuA_X0_I0+0+0+0], v[vgprValuB_X0_I0+2+0+0], a[24:27]
/*  mfmaIndex:7  */
/* localReadsVacancy: latencyLeft 5 */
_ds_load_b32 v[vgprValuB_X2_I0+2], v[vgprLocalReadAddrB] offset:8480 // L -> Reg lro=8 swapByteOffset=0 ti=64 vIdx=1 rIdx=0 oIdx=0 buffer=2 iui=0
_ds_load_b32 v[vgprValuB_X2_I0+3], v[vgprLocalReadAddrB] offset:8608 // L -> Reg lro=8 swapByteOffset=0 ti=64 vIdx=1 rIdx=0 oIdx=0 buffer=2 iui=0
_buffer_load_b32 v[vgprG2LA+7], v[vgprGlobalReadOffsetA+0], s[sgprSrdA:sgprSrdA+3], s[sgprScalarGlobalReadOffsetA+6], offen offset:0 // G -> Reg 1_0_2_0
v_mfma_f32_16x16x4_f32 a[28+0:31+0], v[vgprValuA_X0_I0+1+0+0], v[vgprValuB_X0_I0+2+0+0], a[28:31]
/*  mfmaIndex:8  */
/* localReadsVacancy: latencyLeft 5 */
_ds_load_b32 v[vgprValuA_X3_I0+0], v[vgprLocalReadAddrA] offset:5376 // L -> Reg lro=1344 swapByteOffset=0 ti=32 vIdx=0 rIdx=0 oIdx=0 buffer=3 iui=0
_ds_load_b32 v[vgprValuB_X3_I0+0], v[vgprLocalReadAddrB] offset:48 // L -> Reg lro=12 swapByteOffset=0 ti=64 vIdx=0 rIdx=0 oIdx=0 buffer=3 iui=0
_buffer_load_b32 v[vgprG2LA+8], v[vgprGlobalReadOffsetA+0], s[sgprSrdA:sgprSrdA+3], s[sgprScalarGlobalReadOffsetA+7], offen offset:0 // G -> Reg 2_0_2_0
v_mfma_f32_16x16x4_f32 a[32+0:35+0], v[vgprValuA_X0_I0+2+0+0], v[vgprValuB_X0_I0+2+0+0], a[32:35]
/*  mfmaIndex:9  */
/* localReadsVacancy: latencyLeft 5 */
_ds_load_b32 v[vgprValuA_X3_I0+1], v[vgprLocalReadAddrA] offset:5504 // L -> Reg lro=1344 swapByteOffset=0 ti=32 vIdx=1 rIdx=0 oIdx=0 buffer=3 iui=0
_ds_load_b32 v[vgprValuA_X3_I0+2], v[vgprLocalReadAddrA] offset:5632 // L -> Reg lro=1344 swapByteOffset=0 ti=32 vIdx=2 rIdx=0 oIdx=0 buffer=3 iui=0
_buffer_load_b32 v[vgprG2LA+9], v[vgprGlobalReadOffsetA+0], s[sgprSrdA:sgprSrdA+3], s[sgprScalarGlobalReadOffsetA+8], offen offset:0 // G -> Reg 0_0_3_0
v_mfma_f32_16x16x4_f32 a[44+0:47+0], v[vgprValuA_X0_I0+2+0+0], v[vgprValuB_X0_I0+3+0+0], a[44:47]
/*  mfmaIndex:10  */
/* localReadsVacancy: latencyLeft 5 */
_ds_load_b32 v[vgprValuB_X3_I0+1], v[vgprLocalReadAddrB] offset:176 // L -> Reg lro=12 swapByteOffset=0 ti=64 vIdx=0 rIdx=0 oIdx=0 buffer=3 iui=0
_ds_load_b32 v[vgprValuB_X3_I0+2], v[vgprLocalReadAddrB] offset:8496 // L -> Reg lro=12 swapByteOffset=0 ti=64 vIdx=1 rIdx=0 oIdx=0 buffer=3 iui=0
_buffer_load_b32 v[vgprG2LA+10], v[vgprGlobalReadOffsetA+0], s[sgprSrdA:sgprSrdA+3], s[sgprScalarGlobalReadOffsetA+9], offen offset:0 // G -> Reg 1_0_3_0
v_mfma_f32_16x16x4_f32 a[40+0:43+0], v[vgprValuA_X0_I0+1+0+0], v[vgprValuB_X0_I0+3+0+0], a[40:43]
/*  mfmaIndex:11  */
/* localReadsVacancy: latencyLeft 5 */
_ds_load_b32 v[vgprValuB_X3_I0+3], v[vgprLocalReadAddrB] offset:8624 // L -> Reg lro=12 swapByteOffset=0 ti=64 vIdx=1 rIdx=0 oIdx=0 buffer=3 iui=0
_ds_load_b32 v[vgprValuA_X4_I0+0], v[vgprLocalReadAddrA] offset:7168 // L -> Reg lro=1792 swapByteOffset=0 ti=32 vIdx=0 rIdx=0 oIdx=0 buffer=4 iui=0
_buffer_load_b32 v[vgprG2LA+11], v[vgprGlobalReadOffsetA+0], s[sgprSrdA:sgprSrdA+3], s[sgprScalarGlobalReadOffsetA+10], offen offset:0 // G -> Reg 2_0_3_0
v_mfma_f32_16x16x4_f32 a[36+0:39+0], v[vgprValuA_X0_I0+0+0+0], v[vgprValuB_X0_I0+3+0+0], a[36:39]
/* numPrefetchIter=0 */
/* dataAtIterA=-1 numReadsIterA=1 skipReadsIterA=1 readsPerIterA=3 */
/* dataAtIterB=-1 numReadsIterB=1 skipReadsIterB=1 readsPerIterB=4 */


/* iter 1 */

/*  grEndMfmaIndex:27, lwStartMfmaIndex:61, lwEndMfmaIndex:88  */
/*  numMfmaForLR:4, barrierMfmaIndex:91 */
/*  mfmaIndex:12  */
/* localReadsVacancy: latencyLeft 5 */
_ds_load_b32 v[vgprValuB_X4_I0+0], v[vgprLocalReadAddrB] offset:64 // L -> Reg lro=16 swapByteOffset=0 ti=64 vIdx=0 rIdx=0 oIdx=0 buffer=4 iui=0
_ds_load_b32 v[vgprValuA_X4_I0+1], v[vgprLocalReadAddrA] offset:7296 // L -> Reg lro=1792 swapByteOffset=0 ti=32 vIdx=1 rIdx=0 oIdx=0 buffer=4 iui=0
_buffer_load_b32 v[vgprG2LB+0], v[vgprGlobalReadOffsetB+0], s[sgprSrdB:sgprSrdB+3], 0, offen offset:0 // G -> Reg 0_0_0_0
s_waitcnt lgkmcnt(15)                              // lgkmcnt=0 vmcnt=-1wait for prior local read local write old=7, new=7 newLW=0 newLR=0
v_mfma_f32_16x16x4_f32 a[0+0:3+0], v[vgprValuA_X1_I0+0+0+0], v[vgprValuB_X1_I0+0+0+0], a[0:3]
/*  mfmaIndex:13  */
/* localReadsVacancy: latencyLeft 5 */
_ds_load_b32 v[vgprValuA_X4_I0+2], v[vgprLocalReadAddrA] offset:7424 // L -> Reg lro=1792 swapByteOffset=0 ti=32 vIdx=2 rIdx=0 oIdx=0 buffer=4 iui=0
_ds_load_b32 v[vgprValuB_X4_I0+1], v[vgprLocalReadAddrB] offset:192 // L -> Reg lro=16 swapByteOffset=0 ti=64 vIdx=0 rIdx=0 oIdx=0 buffer=4 iui=0
_buffer_load_b32 v[vgprG2LB+1], v[vgprGlobalReadOffsetB+0], s[sgprSrdB:sgprSrdB+3], s[sgprScalarGlobalReadOffsetB+0], offen offset:0 // G -> Reg 0_0_1_0
v_mfma_f32_16x16x4_f32 a[4+0:7+0], v[vgprValuA_X1_I0+1+0+0], v[vgprValuB_X1_I0+0+0+0], a[4:7]
/*  mfmaIndex:14  */
/* localReadsVacancy: latencyLeft 5 */
_ds_load_b32 v[vgprValuB_X4_I0+2], v[vgprLocalReadAddrB] offset:8512 // L -> Reg lro=16 swapByteOffset=0 ti=64 vIdx=1 rIdx=0 oIdx=0 buffer=4 iui=0
_ds_load_b32 v[vgprValuB_X4_I0+3], v[vgprLocalReadAddrB] offset:8640 // L -> Reg lro=16 swapByteOffset=0 ti=64 vIdx=1 rIdx=0 oIdx=0 buffer=4 iui=0
_buffer_load_b32 v[vgprG2LB+2], v[vgprGlobalReadOffsetB+0], s[sgprSrdB:sgprSrdB+3], s[sgprScalarGlobalReadOffsetB+1], offen offset:0 // G -> Reg 0_0_2_0
v_mfma_f32_16x16x4_f32 a[8+0:11+0], v[vgprValuA_X1_I0+2+0+0], v[vgprValuB_X1_I0+0+0+0], a[8:11]
/*  mfmaIndex:15  */
/* localReadsVacancy: latencyLeft 5 */
_ds_load_b32 v[vgprValuA_X5_I0+0], v[vgprLocalReadAddrA] offset:8960 // L -> Reg lro=2240 swapByteOffset=0 ti=32 vIdx=0 rIdx=0 oIdx=0 buffer=5 iui=0
_ds_load_b32 v[vgprValuB_X5_I0+0], v[vgprLocalReadAddrB] offset:80 // L -> Reg lro=20 swapByteOffset=0 ti=64 vIdx=0 rIdx=0 oIdx=0 buffer=5 iui=0
_buffer_load_b32 v[vgprG2LB+3], v[vgprGlobalReadOffsetB+0], s[sgprSrdB:sgprSrdB+3], s[sgprScalarGlobalReadOffsetB+2], offen offset:0 // G -> Reg 0_0_3_0
v_mfma_f32_16x16x4_f32 a[20+0:23+0], v[vgprValuA_X1_I0+2+0+0], v[vgprValuB_X1_I0+1+0+0], a[20:23]
/*  mfmaIndex:16  */
/* localReadsVacancy: latencyLeft 5 */
_ds_load_b32 v[vgprValuA_X5_I0+1], v[vgprLocalReadAddrA] offset:9088 // L -> Reg lro=2240 swapByteOffset=0 ti=32 vIdx=1 rIdx=0 oIdx=0 buffer=5 iui=0
_ds_load_b32 v[vgprValuA_X5_I0+2], v[vgprLocalReadAddrA] offset:9216 // L -> Reg lro=2240 swapByteOffset=0 ti=32 vIdx=2 rIdx=0 oIdx=0 buffer=5 iui=0
_buffer_load_b32 v[vgprG2LB+4], v[vgprGlobalReadOffsetB+0], s[sgprSrdB:sgprSrdB+3], s[sgprScalarGlobalReadOffsetB+3], offen offset:0 // G -> Reg 0_0_4_0
v_mfma_f32_16x16x4_f32 a[16+0:19+0], v[vgprValuA_X1_I0+1+0+0], v[vgprValuB_X1_I0+1+0+0], a[16:19]
/*  mfmaIndex:17  */
/* localReadsVacancy: latencyLeft 5 */
_ds_load_b32 v[vgprValuB_X5_I0+1], v[vgprLocalReadAddrB] offset:208 // L -> Reg lro=20 swapByteOffset=0 ti=64 vIdx=0 rIdx=0 oIdx=0 buffer=5 iui=0
_ds_load_b32 v[vgprValuB_X5_I0+2], v[vgprLocalReadAddrB] offset:8528 // L -> Reg lro=20 swapByteOffset=0 ti=64 vIdx=1 rIdx=0 oIdx=0 buffer=5 iui=0
_buffer_load_b32 v[vgprG2LB+5], v[vgprGlobalReadOffsetB+0], s[sgprSrdB:sgprSrdB+3], s[sgprScalarGlobalReadOffsetB+4], offen offset:0 // G -> Reg 0_0_5_0
v_mfma_f32_16x16x4_f32 a[12+0:15+0], v[vgprValuA_X1_I0+0+0+0], v[vgprValuB_X1_I0+1+0+0], a[12:15]
/*  mfmaIndex:18  */
/* localReadsVacancy: latencyLeft 5 */
_ds_load_b32 v[vgprValuB_X5_I0+3], v[vgprLocalReadAddrB] offset:8656 // L -> Reg lro=20 swapByteOffset=0 ti=64 vIdx=1 rIdx=0 oIdx=0 buffer=5 iui=0
_ds_load_b32 v[vgprValuA_X6_I0+0], v[vgprLocalReadAddrA] offset:10752 // L -> Reg lro=2688 swapByteOffset=0 ti=32 vIdx=0 rIdx=0 oIdx=0 buffer=6 iui=0
_buffer_load_b32 v[vgprG2LB+6], v[vgprGlobalReadOffsetB+0], s[sgprSrdB:sgprSrdB+3], s[sgprScalarGlobalReadOffsetB+5], offen offset:0 // G -> Reg 0_0_6_0
v_mfma_f32_16x16x4_f32 a[24+0:27+0], v[vgprValuA_X1_I0+0+0+0], v[vgprValuB_X1_I0+2+0+0], a[24:27]
/*  mfmaIndex:19  */
/* localReadsVacancy: latencyLeft 5 */
_ds_load_b32 v[vgprValuB_X6_I0+0], v[vgprLocalReadAddrB] offset:96 // L -> Reg lro=24 swapByteOffset=0 ti=64 vIdx=0 rIdx=0 oIdx=0 buffer=6 iui=0
_ds_load_b32 v[vgprValuA_X6_I0+1], v[vgprLocalReadAddrA] offset:10880 // L -> Reg lro=2688 swapByteOffset=0 ti=32 vIdx=1 rIdx=0 oIdx=0 buffer=6 iui=0
_buffer_load_b32 v[vgprG2LB+7], v[vgprGlobalReadOffsetB+0], s[sgprSrdB:sgprSrdB+3], s[sgprScalarGlobalReadOffsetB+6], offen offset:0 // G -> Reg 0_0_7_0
v_mfma_f32_16x16x4_f32 a[28+0:31+0], v[vgprValuA_X1_I0+1+0+0], v[vgprValuB_X1_I0+2+0+0], a[28:31]
/*  mfmaIndex:20  */
/* localReadsVacancy: latencyLeft 5 */
_ds_load_b32 v[vgprValuA_X6_I0+2], v[vgprLocalReadAddrA] offset:11008 // L -> Reg lro=2688 swapByteOffset=0 ti=32 vIdx=2 rIdx=0 oIdx=0 buffer=6 iui=0
_ds_load_b32 v[vgprValuB_X6_I0+1], v[vgprLocalReadAddrB] offset:224 // L -> Reg lro=24 swapByteOffset=0 ti=64 vIdx=0 rIdx=0 oIdx=0 buffer=6 iui=0
_buffer_load_b32 v[vgprG2LB+8], v[vgprGlobalReadOffsetB+0], s[sgprSrdB:sgprSrdB+3], s[sgprScalarGlobalReadOffsetB+7], offen offset:0 // G -> Reg 0_0_8_0
v_mfma_f32_16x16x4_f32 a[32+0:35+0], v[vgprValuA_X1_I0+2+0+0], v[vgprValuB_X1_I0+2+0+0], a[32:35]
/*  mfmaIndex:21  */
/* localReadsVacancy: latencyLeft 5 */
_ds_load_b32 v[vgprValuB_X6_I0+2], v[vgprLocalReadAddrB] offset:8544 // L -> Reg lro=24 swapByteOffset=0 ti=64 vIdx=1 rIdx=0 oIdx=0 buffer=6 iui=0
_ds_load_b32 v[vgprValuB_X6_I0+3], v[vgprLocalReadAddrB] offset:8672 // L -> Reg lro=24 swapByteOffset=0 ti=64 vIdx=1 rIdx=0 oIdx=0 buffer=6 iui=0
_buffer_load_b32 v[vgprG2LB+9], v[vgprGlobalReadOffsetB+0], s[sgprSrdB:sgprSrdB+3], s[sgprScalarGlobalReadOffsetB+8], offen offset:0 // G -> Reg 0_0_9_0
v_mfma_f32_16x16x4_f32 a[44+0:47+0], v[vgprValuA_X1_I0+2+0+0], v[vgprValuB_X1_I0+3+0+0], a[44:47]
/*  mfmaIndex:22  */
/* localReadsVacancy: latencyLeft 5 */
_ds_load_b32 v[vgprValuA_X7_I0+0], v[vgprLocalReadAddrA] offset:12544 // L -> Reg lro=3136 swapByteOffset=0 ti=32 vIdx=0 rIdx=0 oIdx=0 buffer=7 iui=0
_ds_load_b32 v[vgprValuB_X7_I0+0], v[vgprLocalReadAddrB] offset:112 // L -> Reg lro=28 swapByteOffset=0 ti=64 vIdx=0 rIdx=0 oIdx=0 buffer=7 iui=0
_buffer_load_b32 v[vgprG2LB+10], v[vgprGlobalReadOffsetB+0], s[sgprSrdB:sgprSrdB+3], s[sgprScalarGlobalReadOffsetB+9], offen offset:0 // G -> Reg 0_0_10_0
v_mfma_f32_16x16x4_f32 a[40+0:43+0], v[vgprValuA_X1_I0+1+0+0], v[vgprValuB_X1_I0+3+0+0], a[40:43]
/*  mfmaIndex:23  */
/* localReadsVacancy: latencyLeft 5 */
_ds_load_b32 v[vgprValuA_X7_I0+1], v[vgprLocalReadAddrA] offset:12672 // L -> Reg lro=3136 swapByteOffset=0 ti=32 vIdx=1 rIdx=0 oIdx=0 buffer=7 iui=0
_ds_load_b32 v[vgprValuA_X7_I0+2], v[vgprLocalReadAddrA] offset:12800 // L -> Reg lro=3136 swapByteOffset=0 ti=32 vIdx=2 rIdx=0 oIdx=0 buffer=7 iui=0
_buffer_load_b32 v[vgprG2LB+11], v[vgprGlobalReadOffsetB+0], s[sgprSrdB:sgprSrdB+3], s[sgprScalarGlobalReadOffsetB+10], offen offset:0 // G -> Reg 0_0_11_0
v_mfma_f32_16x16x4_f32 a[36+0:39+0], v[vgprValuA_X1_I0+0+0+0], v[vgprValuB_X1_I0+3+0+0], a[36:39]
/* numPrefetchIter=0 */
/* dataAtIterA=0 numReadsIterA=2 skipReadsIterA=1 readsPerIterA=3 */
/* dataAtIterB=0 numReadsIterB=2 skipReadsIterB=1 readsPerIterB=4 */


/* iter 2 */

/*  grEndMfmaIndex:27, lwStartMfmaIndex:61, lwEndMfmaIndex:88  */
/*  numMfmaForLR:4, barrierMfmaIndex:91 */
/*  mfmaIndex:24  */
/* localReadsVacancy: latencyLeft 5 */
_ds_load_b32 v[vgprValuB_X7_I0+1], v[vgprLocalReadAddrB] offset:240 // L -> Reg lro=28 swapByteOffset=0 ti=64 vIdx=0 rIdx=0 oIdx=0 buffer=7 iui=0
_ds_load_b32 v[vgprValuB_X7_I0+2], v[vgprLocalReadAddrB] offset:8560 // L -> Reg lro=28 swapByteOffset=0 ti=64 vIdx=1 rIdx=0 oIdx=0 buffer=7 iui=0
_buffer_load_b32 v[vgprG2LB+12], v[vgprGlobalReadOffsetB+0], s[sgprSrdB:sgprSrdB+3], s[sgprScalarGlobalReadOffsetB+11], offen offset:0 // G -> Reg 0_0_12_0
s_waitcnt lgkmcnt(15)                              // lgkmcnt=0 vmcnt=-1wait for prior local read local write old=0, new=0 newLW=0 newLR=0
v_mfma_f32_16x16x4_f32 a[0+0:3+0], v[vgprValuA_X2_I0+0+0+0], v[vgprValuB_X2_I0+0+0+0], a[0:3]
/*  mfmaIndex:25  */
/* localReadsVacancy: latencyLeft 5 */
_ds_load_b32 v[vgprValuB_X7_I0+3], v[vgprLocalReadAddrB] offset:8688 // L -> Reg lro=28 swapByteOffset=0 ti=64 vIdx=1 rIdx=0 oIdx=0 buffer=7 iui=0
_buffer_load_b32 v[vgprG2LB+13], v[vgprGlobalReadOffsetB+0], s[sgprSrdB:sgprSrdB+3], s[sgprScalarGlobalReadOffsetB+12], offen offset:0 // G -> Reg 0_0_13_0
v_mfma_f32_16x16x4_f32 a[4+0:7+0], v[vgprValuA_X2_I0+1+0+0], v[vgprValuB_X2_I0+0+0+0], a[4:7]
/*  mfmaIndex:26  */
/* localReadsVacancy: latencyLeft 5 */
_buffer_load_b32 v[vgprG2LB+14], v[vgprGlobalReadOffsetB+0], s[sgprSrdB:sgprSrdB+3], s[sgprScalarGlobalReadOffsetB+13], offen offset:0 // G -> Reg 0_0_14_0
v_mfma_f32_16x16x4_f32 a[8+0:11+0], v[vgprValuA_X2_I0+2+0+0], v[vgprValuB_X2_I0+0+0+0], a[8:11]
/*  mfmaIndex:27  */
/* localReadsVacancy: latencyLeft 5 */
_buffer_load_b32 v[vgprG2LB+15], v[vgprGlobalReadOffsetB+0], s[sgprSrdB:sgprSrdB+3], s[sgprScalarGlobalReadOffsetB+14], offen offset:0 // G -> Reg 0_0_15_0
v_mfma_f32_16x16x4_f32 a[20+0:23+0], v[vgprValuA_X2_I0+2+0+0], v[vgprValuB_X2_I0+1+0+0], a[20:23]
/*  mfmaIndex:28  */
/* localReadsVacancy: latencyLeft 5 */

/* global read inc A loopL */
s_cmp_eq_u32 s[sgprLoopCounterL], s[sgprStaggerUIter] // Is this the wrapIter?
s_cselect_b32 s84, s[sgprWrapUA+0], s[sgprGlobalReadIncsA+0] // incLower <- ?
s_cselect_b32 s85, s[sgprWrapUA+1], 0              // incUpper <- ?
v_mfma_f32_16x16x4_f32 a[16+0:19+0], v[vgprValuA_X2_I0+1+0+0], v[vgprValuB_X2_I0+1+0+0], a[16:19]
/*  mfmaIndex:29  */
/* localReadsVacancy: latencyLeft 5 */
s_add_u32 s[sgprSrdA+0], s[sgprSrdA+0], s84        // gra SRD += inc(lower)
s_addc_u32  s[sgprSrdA+1], s[sgprSrdA+1], s85      // gra SRD += inc(upper)
s_sub_u32 s[sgprShadowLimitA+0], s[sgprShadowLimitA+0], s84 // limit -= inc)
v_mfma_f32_16x16x4_f32 a[12+0:15+0], v[vgprValuA_X2_I0+0+0+0], v[vgprValuB_X2_I0+1+0+0], a[12:15]
/*  mfmaIndex:30  */
/* localReadsVacancy: latencyLeft 5 */
s_subb_u32 s[sgprShadowLimitA+1], s[sgprShadowLimitA+1], s85 // limit -= inc)
s_cmp_eq_u32 s[sgprShadowLimitA+1], 0              // are we within 2^32?
s_cselect_b32 s[sgprSrdA+2], s[sgprShadowLimitA+0], BufferLimitA // Move shadow to real if we are within 2^32
v_mfma_f32_16x16x4_f32 a[24+0:27+0], v[vgprValuA_X2_I0+0+0+0], v[vgprValuB_X2_I0+2+0+0], a[24:27]
/*  mfmaIndex:31  */
/* localReadsVacancy: latencyLeft 5 */

/* global read inc B loopL */
s_cmp_eq_u32 s[sgprLoopCounterL], s[sgprStaggerUIter] // Is this the wrapIter?
s_cselect_b32 s84, s[sgprWrapUB+0], s[sgprGlobalReadIncsB+0] // incLower <- ?
s_cselect_b32 s85, s[sgprWrapUB+1], 0              // incUpper <- ?
v_mfma_f32_16x16x4_f32 a[28+0:31+0], v[vgprValuA_X2_I0+1+0+0], v[vgprValuB_X2_I0+2+0+0], a[28:31]
/*  mfmaIndex:32  */
/* localReadsVacancy: latencyLeft 5 */
s_add_u32 s[sgprSrdB+0], s[sgprSrdB+0], s84        // gra SRD += inc(lower)
s_addc_u32  s[sgprSrdB+1], s[sgprSrdB+1], s85      // gra SRD += inc(upper)
s_sub_u32 s[sgprShadowLimitB+0], s[sgprShadowLimitB+0], s84 // limit -= inc)
v_mfma_f32_16x16x4_f32 a[32+0:35+0], v[vgprValuA_X2_I0+2+0+0], v[vgprValuB_X2_I0+2+0+0], a[32:35]
/*  mfmaIndex:33  */
/* localReadsVacancy: latencyLeft 5 */
s_subb_u32 s[sgprShadowLimitB+1], s[sgprShadowLimitB+1], s85 // limit -= inc)
s_cmp_eq_u32 s[sgprShadowLimitB+1], 0              // are we within 2^32?
s_cselect_b32 s[sgprSrdB+2], s[sgprShadowLimitB+0], BufferLimitB // Move shadow to real if we are within 2^32
v_mfma_f32_16x16x4_f32 a[44+0:47+0], v[vgprValuA_X2_I0+2+0+0], v[vgprValuB_X2_I0+3+0+0], a[44:47]
/*  mfmaIndex:34  */
/* localReadsVacancy: latencyLeft 5 */
v_mfma_f32_16x16x4_f32 a[40+0:43+0], v[vgprValuA_X2_I0+1+0+0], v[vgprValuB_X2_I0+3+0+0], a[40:43]
/*  mfmaIndex:35  */
/* localReadsVacancy: latencyLeft 5 */
v_mfma_f32_16x16x4_f32 a[36+0:39+0], v[vgprValuA_X2_I0+0+0+0], v[vgprValuB_X2_I0+3+0+0], a[36:39]
/* numPrefetchIter=0 */
/* dataAtIterA=1 numReadsIterA=3 skipReadsIterA=1 readsPerIterA=3 */
/* dataAtIterB=1 numReadsIterB=3 skipReadsIterB=1 readsPerIterB=4 */


/* iter 3 */

/*  grEndMfmaIndex:27, lwStartMfmaIndex:61, lwEndMfmaIndex:88  */
/*  numMfmaForLR:4, barrierMfmaIndex:91 */
/*  mfmaIndex:36  */
/* localReadsVacancy: latencyLeft 5 */
s_waitcnt lgkmcnt(15)                              // lgkmcnt=0 vmcnt=-1wait for prior local read local write old=6, new=6 newLW=0 newLR=0
v_mfma_f32_16x16x4_f32 a[0+0:3+0], v[vgprValuA_X3_I0+0+0+0], v[vgprValuB_X3_I0+0+0+0], a[0:3]
/*  mfmaIndex:37  */
/* localReadsVacancy: latencyLeft 5 */
v_mfma_f32_16x16x4_f32 a[4+0:7+0], v[vgprValuA_X3_I0+1+0+0], v[vgprValuB_X3_I0+0+0+0], a[4:7]
/*  mfmaIndex:38  */
/* localReadsVacancy: latencyLeft 5 */
	;; [unrolled: 3-line block ×11, first 2 shown]
v_mfma_f32_16x16x4_f32 a[36+0:39+0], v[vgprValuA_X3_I0+0+0+0], v[vgprValuB_X3_I0+3+0+0], a[36:39]
/* numPrefetchIter=0 */
/* dataAtIterA=2 numReadsIterA=4 skipReadsIterA=1 readsPerIterA=3 */
/* dataAtIterB=2 numReadsIterB=4 skipReadsIterB=1 readsPerIterB=4 */


/* iter 4 */

/*  grEndMfmaIndex:27, lwStartMfmaIndex:61, lwEndMfmaIndex:88  */
/*  numMfmaForLR:4, barrierMfmaIndex:91 */
/*  mfmaIndex:48  */
/* localReadsVacancy: latencyLeft 5 */
s_waitcnt lgkmcnt(15)                              // lgkmcnt=0 vmcnt=-1wait for prior local read local write old=7, new=7 newLW=0 newLR=0
v_mfma_f32_16x16x4_f32 a[0+0:3+0], v[vgprValuA_X4_I0+0+0+0], v[vgprValuB_X4_I0+0+0+0], a[0:3]
/*  mfmaIndex:49  */
/* localReadsVacancy: latencyLeft 5 */
v_mfma_f32_16x16x4_f32 a[4+0:7+0], v[vgprValuA_X4_I0+1+0+0], v[vgprValuB_X4_I0+0+0+0], a[4:7]
/*  mfmaIndex:50  */
/* localReadsVacancy: latencyLeft 5 */
	;; [unrolled: 3-line block ×11, first 2 shown]
v_mfma_f32_16x16x4_f32 a[36+0:39+0], v[vgprValuA_X4_I0+0+0+0], v[vgprValuB_X4_I0+3+0+0], a[36:39]
/* numPrefetchIter=0 */
/* dataAtIterA=3 numReadsIterA=5 skipReadsIterA=1 readsPerIterA=3 */
/* dataAtIterB=3 numReadsIterB=5 skipReadsIterB=1 readsPerIterB=4 */


/* iter 5 */

/*  grEndMfmaIndex:27, lwStartMfmaIndex:61, lwEndMfmaIndex:88  */
/*  numMfmaForLR:4, barrierMfmaIndex:91 */
/*  mfmaIndex:60  */
/* localReadsVacancy: latencyLeft 5 */
/* 1 LDS buffer: read-sync-write */
s_waitcnt lgkmcnt(0)                               // 
s_barrier                                          // 
s_waitcnt lgkmcnt(14)                              // lgkmcnt=0 vmcnt=-1wait for prior local read local write old=7, new=7 newLW=0 newLR=0
v_mfma_f32_16x16x4_f32 a[0+0:3+0], v[vgprValuA_X5_I0+0+0+0], v[vgprValuB_X5_I0+0+0+0], a[0:3]
/*  mfmaIndex:61  */
/* localReadsVacancy: latencyLeft 1 */
/* sched write - iter 5 writesPerItem=1 */
s_waitcnt vmcnt(0)                                 // lgkmcnt=-1 vmcnt=0wait for global read before writing to local
_ds_store_b32 v[vgprLocalWriteAddrA], v[vgprG2LA+0] offset:0 // lwoA_0_0_0_0 = (0*LSCA) + (0*LSPA)(*MT0I+PAD) = 0
v_mfma_f32_16x16x4_f32 a[4+0:7+0], v[vgprValuA_X5_I0+1+0+0], v[vgprValuB_X5_I0+0+0+0], a[4:7]
/*  mfmaIndex:62  */
/* sched write - iter 5 writesPerItem=1 */
s_waitcnt vmcnt(0)                                 // lgkmcnt=-1 vmcnt=0wait for global read before writing to local
_ds_store_b32 v[vgprLocalWriteAddrA], v[vgprG2LA+1] offset:128 // lwoA_1_0_0_0 = (1*LSCA) + (0*LSPA)(*MT0I+PAD) = 128
v_mfma_f32_16x16x4_f32 a[8+0:11+0], v[vgprValuA_X5_I0+2+0+0], v[vgprValuB_X5_I0+0+0+0], a[8:11]
/*  mfmaIndex:63  */
/* sched write - iter 5 writesPerItem=1 */
s_waitcnt vmcnt(0)                                 // lgkmcnt=-1 vmcnt=0wait for global read before writing to local
_ds_store_b32 v[vgprLocalWriteAddrA], v[vgprG2LA+2] offset:256 // lwoA_2_0_0_0 = (2*LSCA) + (0*LSPA)(*MT0I+PAD) = 256
v_mfma_f32_16x16x4_f32 a[20+0:23+0], v[vgprValuA_X5_I0+2+0+0], v[vgprValuB_X5_I0+1+0+0], a[20:23]
/*  mfmaIndex:64  */
/* sched write - iter 5 writesPerItem=1 */
s_waitcnt vmcnt(0)                                 // lgkmcnt=-1 vmcnt=0wait for global read before writing to local
_ds_store_b32 v[vgprLocalWriteAddrA], v[vgprG2LA+3] offset:3584 // lwoA_0_0_1_0 = (0*LSCA) + (1*LSPA)(*MT0I+PAD) = 3584
v_mfma_f32_16x16x4_f32 a[16+0:19+0], v[vgprValuA_X5_I0+1+0+0], v[vgprValuB_X5_I0+1+0+0], a[16:19]
/*  mfmaIndex:65  */
/* sched write - iter 5 writesPerItem=1 */
s_waitcnt vmcnt(0)                                 // lgkmcnt=-1 vmcnt=0wait for global read before writing to local
_ds_store_b32 v[vgprLocalWriteAddrA], v[vgprG2LA+4] offset:3712 // lwoA_1_0_1_0 = (1*LSCA) + (1*LSPA)(*MT0I+PAD) = 3712
v_mfma_f32_16x16x4_f32 a[12+0:15+0], v[vgprValuA_X5_I0+0+0+0], v[vgprValuB_X5_I0+1+0+0], a[12:15]
/*  mfmaIndex:66  */
/* sched write - iter 5 writesPerItem=1 */
s_waitcnt vmcnt(0)                                 // lgkmcnt=-1 vmcnt=0wait for global read before writing to local
_ds_store_b32 v[vgprLocalWriteAddrA], v[vgprG2LA+5] offset:3840 // lwoA_2_0_1_0 = (2*LSCA) + (1*LSPA)(*MT0I+PAD) = 3840
v_mfma_f32_16x16x4_f32 a[24+0:27+0], v[vgprValuA_X5_I0+0+0+0], v[vgprValuB_X5_I0+2+0+0], a[24:27]
/*  mfmaIndex:67  */
/* sched write - iter 5 writesPerItem=1 */
s_waitcnt vmcnt(0)                                 // lgkmcnt=-1 vmcnt=0wait for global read before writing to local
_ds_store_b32 v[vgprLocalWriteAddrA], v[vgprG2LA+6] offset:7168 // lwoA_0_0_2_0 = (0*LSCA) + (2*LSPA)(*MT0I+PAD) = 7168
v_mfma_f32_16x16x4_f32 a[28+0:31+0], v[vgprValuA_X5_I0+1+0+0], v[vgprValuB_X5_I0+2+0+0], a[28:31]
/*  mfmaIndex:68  */
/* sched write - iter 5 writesPerItem=1 */
s_waitcnt vmcnt(0)                                 // lgkmcnt=-1 vmcnt=0wait for global read before writing to local
_ds_store_b32 v[vgprLocalWriteAddrA], v[vgprG2LA+7] offset:7296 // lwoA_1_0_2_0 = (1*LSCA) + (2*LSPA)(*MT0I+PAD) = 7296
v_mfma_f32_16x16x4_f32 a[32+0:35+0], v[vgprValuA_X5_I0+2+0+0], v[vgprValuB_X5_I0+2+0+0], a[32:35]
/*  mfmaIndex:69  */
/* sched write - iter 5 writesPerItem=1 */
s_waitcnt vmcnt(0)                                 // lgkmcnt=-1 vmcnt=0wait for global read before writing to local
_ds_store_b32 v[vgprLocalWriteAddrA], v[vgprG2LA+8] offset:7424 // lwoA_2_0_2_0 = (2*LSCA) + (2*LSPA)(*MT0I+PAD) = 7424
v_mfma_f32_16x16x4_f32 a[44+0:47+0], v[vgprValuA_X5_I0+2+0+0], v[vgprValuB_X5_I0+3+0+0], a[44:47]
/*  mfmaIndex:70  */
/* sched write - iter 5 writesPerItem=1 */
s_waitcnt vmcnt(0)                                 // lgkmcnt=-1 vmcnt=0wait for global read before writing to local
_ds_store_b32 v[vgprLocalWriteAddrA], v[vgprG2LA+9] offset:10752 // lwoA_0_0_3_0 = (0*LSCA) + (3*LSPA)(*MT0I+PAD) = 10752
v_mfma_f32_16x16x4_f32 a[40+0:43+0], v[vgprValuA_X5_I0+1+0+0], v[vgprValuB_X5_I0+3+0+0], a[40:43]
/*  mfmaIndex:71  */
/* sched write - iter 5 writesPerItem=1 */
s_waitcnt vmcnt(0)                                 // lgkmcnt=-1 vmcnt=0wait for global read before writing to local
_ds_store_b32 v[vgprLocalWriteAddrA], v[vgprG2LA+10] offset:10880 // lwoA_1_0_3_0 = (1*LSCA) + (3*LSPA)(*MT0I+PAD) = 10880
v_mfma_f32_16x16x4_f32 a[36+0:39+0], v[vgprValuA_X5_I0+0+0+0], v[vgprValuB_X5_I0+3+0+0], a[36:39]
/* numPrefetchIter=0 */
/* dataAtIterA=4 numReadsIterA=6 skipReadsIterA=1 readsPerIterA=3 */
/* dataAtIterB=4 numReadsIterB=6 skipReadsIterB=1 readsPerIterB=4 */


/* iter 6 (reset local read pointers iteration)  (swap local read pointers iteration)  */

/*  grEndMfmaIndex:27, lwStartMfmaIndex:61, lwEndMfmaIndex:88  */
/*  numMfmaForLR:4, barrierMfmaIndex:91 */
/*  mfmaIndex:72  */
/* sched write - iter 6 writesPerItem=1 */
s_waitcnt vmcnt(0)                                 // lgkmcnt=-1 vmcnt=0wait for global read before writing to local
_ds_store_b32 v[vgprLocalWriteAddrA], v[vgprG2LA+11] offset:11008 // lwoA_2_0_3_0 = (2*LSCA) + (3*LSPA)(*MT0I+PAD) = 11008
v_mfma_f32_16x16x4_f32 a[0+0:3+0], v[vgprValuA_X6_I0+0+0+0], v[vgprValuB_X6_I0+0+0+0], a[0:3]
/*  mfmaIndex:73  */
/* sched write - iter 6 writesPerItem=1 */
s_waitcnt vmcnt(0)                                 // lgkmcnt=-1 vmcnt=0wait for global read before writing to local
_ds_store_b32 v[vgprLocalWriteAddrB], v[vgprG2LB+0] offset:0 // lwoB_0_0_0_0 = (0*LSCB)*(MT1J+PAD) + (0*LSPB) = 0
v_mfma_f32_16x16x4_f32 a[4+0:7+0], v[vgprValuA_X6_I0+1+0+0], v[vgprValuB_X6_I0+0+0+0], a[4:7]
/*  mfmaIndex:74  */
/* sched write - iter 6 writesPerItem=1 */
s_waitcnt vmcnt(0)                                 // lgkmcnt=-1 vmcnt=0wait for global read before writing to local
_ds_store_b32 v[vgprLocalWriteAddrB], v[vgprG2LB+1] offset:1056 // lwoB_0_0_1_0 = (0*LSCB)*(MT1J+PAD) + (1*LSPB) = 1056
v_mfma_f32_16x16x4_f32 a[8+0:11+0], v[vgprValuA_X6_I0+2+0+0], v[vgprValuB_X6_I0+0+0+0], a[8:11]
/*  mfmaIndex:75  */
/* sched write - iter 6 writesPerItem=1 */
s_waitcnt vmcnt(0)                                 // lgkmcnt=-1 vmcnt=0wait for global read before writing to local
_ds_store_b32 v[vgprLocalWriteAddrB], v[vgprG2LB+2] offset:2112 // lwoB_0_0_2_0 = (0*LSCB)*(MT1J+PAD) + (2*LSPB) = 2112
v_mfma_f32_16x16x4_f32 a[20+0:23+0], v[vgprValuA_X6_I0+2+0+0], v[vgprValuB_X6_I0+1+0+0], a[20:23]
/*  mfmaIndex:76  */
/* sched write - iter 6 writesPerItem=1 */
s_waitcnt vmcnt(0)                                 // lgkmcnt=-1 vmcnt=0wait for global read before writing to local
_ds_store_b32 v[vgprLocalWriteAddrB], v[vgprG2LB+3] offset:3168 // lwoB_0_0_3_0 = (0*LSCB)*(MT1J+PAD) + (3*LSPB) = 3168
v_mfma_f32_16x16x4_f32 a[16+0:19+0], v[vgprValuA_X6_I0+1+0+0], v[vgprValuB_X6_I0+1+0+0], a[16:19]
/*  mfmaIndex:77  */
/* sched write - iter 6 writesPerItem=1 */
s_waitcnt vmcnt(0)                                 // lgkmcnt=-1 vmcnt=0wait for global read before writing to local
_ds_store_b32 v[vgprLocalWriteAddrB], v[vgprG2LB+4] offset:4224 // lwoB_0_0_4_0 = (0*LSCB)*(MT1J+PAD) + (4*LSPB) = 4224
v_mfma_f32_16x16x4_f32 a[12+0:15+0], v[vgprValuA_X6_I0+0+0+0], v[vgprValuB_X6_I0+1+0+0], a[12:15]
/*  mfmaIndex:78  */
/* sched write - iter 6 writesPerItem=1 */
s_waitcnt vmcnt(0)                                 // lgkmcnt=-1 vmcnt=0wait for global read before writing to local
_ds_store_b32 v[vgprLocalWriteAddrB], v[vgprG2LB+5] offset:5280 // lwoB_0_0_5_0 = (0*LSCB)*(MT1J+PAD) + (5*LSPB) = 5280
v_mfma_f32_16x16x4_f32 a[24+0:27+0], v[vgprValuA_X6_I0+0+0+0], v[vgprValuB_X6_I0+2+0+0], a[24:27]
/*  mfmaIndex:79  */
/* sched write - iter 6 writesPerItem=1 */
s_waitcnt vmcnt(0)                                 // lgkmcnt=-1 vmcnt=0wait for global read before writing to local
_ds_store_b32 v[vgprLocalWriteAddrB], v[vgprG2LB+6] offset:6336 // lwoB_0_0_6_0 = (0*LSCB)*(MT1J+PAD) + (6*LSPB) = 6336
v_mfma_f32_16x16x4_f32 a[28+0:31+0], v[vgprValuA_X6_I0+1+0+0], v[vgprValuB_X6_I0+2+0+0], a[28:31]
/*  mfmaIndex:80  */
/* sched write - iter 6 writesPerItem=1 */
s_waitcnt vmcnt(0)                                 // lgkmcnt=-1 vmcnt=0wait for global read before writing to local
_ds_store_b32 v[vgprLocalWriteAddrB], v[vgprG2LB+7] offset:7392 // lwoB_0_0_7_0 = (0*LSCB)*(MT1J+PAD) + (7*LSPB) = 7392
v_mfma_f32_16x16x4_f32 a[32+0:35+0], v[vgprValuA_X6_I0+2+0+0], v[vgprValuB_X6_I0+2+0+0], a[32:35]
/*  mfmaIndex:81  */
/* sched write - iter 6 writesPerItem=1 */
s_waitcnt vmcnt(0)                                 // lgkmcnt=-1 vmcnt=0wait for global read before writing to local
_ds_store_b32 v[vgprLocalWriteAddrB], v[vgprG2LB+8] offset:8448 // lwoB_0_0_8_0 = (0*LSCB)*(MT1J+PAD) + (8*LSPB) = 8448
v_mfma_f32_16x16x4_f32 a[44+0:47+0], v[vgprValuA_X6_I0+2+0+0], v[vgprValuB_X6_I0+3+0+0], a[44:47]
/*  mfmaIndex:82  */
/* sched write - iter 6 writesPerItem=1 */
s_waitcnt vmcnt(0)                                 // lgkmcnt=-1 vmcnt=0wait for global read before writing to local
_ds_store_b32 v[vgprLocalWriteAddrB], v[vgprG2LB+9] offset:9504 // lwoB_0_0_9_0 = (0*LSCB)*(MT1J+PAD) + (9*LSPB) = 9504
v_mfma_f32_16x16x4_f32 a[40+0:43+0], v[vgprValuA_X6_I0+1+0+0], v[vgprValuB_X6_I0+3+0+0], a[40:43]
/*  mfmaIndex:83  */
/* sched write - iter 6 writesPerItem=1 */
s_waitcnt vmcnt(0)                                 // lgkmcnt=-1 vmcnt=0wait for global read before writing to local
_ds_store_b32 v[vgprLocalWriteAddrB], v[vgprG2LB+10] offset:10560 // lwoB_0_0_10_0 = (0*LSCB)*(MT1J+PAD) + (10*LSPB) = 10560

/* local read swap offsets a */

/* local read swap offsets b */

/* local read init pointers a */

/* localReadInitPointers */

/* local read init pointers b */

/* localReadInitPointers */
v_mfma_f32_16x16x4_f32 a[36+0:39+0], v[vgprValuA_X6_I0+0+0+0], v[vgprValuB_X6_I0+3+0+0], a[36:39]


/* iter 7 (swap and reset local write pointers iteration)  */

/*  grEndMfmaIndex:27, lwStartMfmaIndex:61, lwEndMfmaIndex:88  */
/*  numMfmaForLR:4, barrierMfmaIndex:91 */
/*  mfmaIndex:84  */
/* sched write - iter 7 writesPerItem=1 */
s_waitcnt vmcnt(0)                                 // lgkmcnt=-1 vmcnt=0wait for global read before writing to local
_ds_store_b32 v[vgprLocalWriteAddrB], v[vgprG2LB+11] offset:11616 // lwoB_0_0_11_0 = (0*LSCB)*(MT1J+PAD) + (11*LSPB) = 11616
v_mfma_f32_16x16x4_f32 a[0+0:3+0], v[vgprValuA_X7_I0+0+0+0], v[vgprValuB_X7_I0+0+0+0], a[0:3]
/*  mfmaIndex:85  */
/* sched write - iter 7 writesPerItem=1 */
s_waitcnt vmcnt(0)                                 // lgkmcnt=-1 vmcnt=0wait for global read before writing to local
_ds_store_b32 v[vgprLocalWriteAddrB], v[vgprG2LB+12] offset:12672 // lwoB_0_0_12_0 = (0*LSCB)*(MT1J+PAD) + (12*LSPB) = 12672
v_mfma_f32_16x16x4_f32 a[4+0:7+0], v[vgprValuA_X7_I0+1+0+0], v[vgprValuB_X7_I0+0+0+0], a[4:7]
/*  mfmaIndex:86  */
/* sched write - iter 7 writesPerItem=1 */
s_waitcnt vmcnt(0)                                 // lgkmcnt=-1 vmcnt=0wait for global read before writing to local
_ds_store_b32 v[vgprLocalWriteAddrB], v[vgprG2LB+13] offset:13728 // lwoB_0_0_13_0 = (0*LSCB)*(MT1J+PAD) + (13*LSPB) = 13728
v_mfma_f32_16x16x4_f32 a[8+0:11+0], v[vgprValuA_X7_I0+2+0+0], v[vgprValuB_X7_I0+0+0+0], a[8:11]
/*  mfmaIndex:87  */
/* sched write - iter 7 writesPerItem=1 */
s_waitcnt vmcnt(0)                                 // lgkmcnt=-1 vmcnt=0wait for global read before writing to local
_ds_store_b32 v[vgprLocalWriteAddrB], v[vgprG2LB+14] offset:14784 // lwoB_0_0_14_0 = (0*LSCB)*(MT1J+PAD) + (14*LSPB) = 14784
v_mfma_f32_16x16x4_f32 a[20+0:23+0], v[vgprValuA_X7_I0+2+0+0], v[vgprValuB_X7_I0+1+0+0], a[20:23]
/*  mfmaIndex:88  */
/* sched write - iter 7 writesPerItem=1 */
s_waitcnt vmcnt(0)                                 // lgkmcnt=-1 vmcnt=0wait for global read before writing to local
_ds_store_b32 v[vgprLocalWriteAddrB], v[vgprG2LB+15] offset:15840 // lwoB_0_0_15_0 = (0*LSCB)*(MT1J+PAD) + (15*LSPB) = 15840

/* local write swap offsets a */

/* local write swap offsets b */
v_mfma_f32_16x16x4_f32 a[16+0:19+0], v[vgprValuA_X7_I0+1+0+0], v[vgprValuB_X7_I0+1+0+0], a[16:19]
/*  mfmaIndex:89  */
v_mfma_f32_16x16x4_f32 a[12+0:15+0], v[vgprValuA_X7_I0+0+0+0], v[vgprValuB_X7_I0+1+0+0], a[12:15]
/*  mfmaIndex:90  */
	;; [unrolled: 2-line block ×3, first 2 shown]
s_waitcnt lgkmcnt(0)                               // lgkmcnt=0 vmcnt=-13wait for local write
s_waitcnt lgkmcnt(0) & vmcnt(0)                    // force waitcnt0
s_barrier //
v_mfma_f32_16x16x4_f32 a[28+0:31+0], v[vgprValuA_X7_I0+1+0+0], v[vgprValuB_X7_I0+2+0+0], a[28:31]
/*  mfmaIndex:92  */
_ds_load_b32 v[vgprValuA_X0_I0+0], v[vgprLocalReadAddrA] offset:0 // L -> Reg lro=0 swapByteOffset=0 ti=32 vIdx=0 rIdx=0 oIdx=0 buffer=0 iui=0
_ds_load_b32 v[vgprValuB_X0_I0+0], v[vgprLocalReadAddrB] offset:0 // L -> Reg lro=0 swapByteOffset=0 ti=64 vIdx=0 rIdx=0 oIdx=0 buffer=0 iui=0
v_mfma_f32_16x16x4_f32 a[32+0:35+0], v[vgprValuA_X7_I0+2+0+0], v[vgprValuB_X7_I0+2+0+0], a[32:35]
/*  mfmaIndex:93  */
_ds_load_b32 v[vgprValuA_X0_I0+1], v[vgprLocalReadAddrA] offset:128 // L -> Reg lro=0 swapByteOffset=0 ti=32 vIdx=1 rIdx=0 oIdx=0 buffer=0 iui=0
_ds_load_b32 v[vgprValuA_X0_I0+2], v[vgprLocalReadAddrA] offset:256 // L -> Reg lro=0 swapByteOffset=0 ti=32 vIdx=2 rIdx=0 oIdx=0 buffer=0 iui=0
v_mfma_f32_16x16x4_f32 a[44+0:47+0], v[vgprValuA_X7_I0+2+0+0], v[vgprValuB_X7_I0+3+0+0], a[44:47]
/*  mfmaIndex:94  */
_ds_load_b32 v[vgprValuB_X0_I0+1], v[vgprLocalReadAddrB] offset:128 // L -> Reg lro=0 swapByteOffset=0 ti=64 vIdx=0 rIdx=0 oIdx=0 buffer=0 iui=0
_ds_load_b32 v[vgprValuB_X0_I0+2], v[vgprLocalReadAddrB] offset:8448 // L -> Reg lro=0 swapByteOffset=0 ti=64 vIdx=1 rIdx=0 oIdx=0 buffer=0 iui=0
v_mfma_f32_16x16x4_f32 a[40+0:43+0], v[vgprValuA_X7_I0+1+0+0], v[vgprValuB_X7_I0+3+0+0], a[40:43]
/*  mfmaIndex:95  */
_ds_load_b32 v[vgprValuB_X0_I0+3], v[vgprLocalReadAddrB] offset:8576 // L -> Reg lro=0 swapByteOffset=0 ti=64 vIdx=1 rIdx=0 oIdx=0 buffer=0 iui=0
v_mfma_f32_16x16x4_f32 a[36+0:39+0], v[vgprValuA_X7_I0+0+0+0], v[vgprValuB_X7_I0+3+0+0], a[36:39]


/******************************************/
/* Unrolled Loop - End 2/2 (final)        */
/******************************************/


/* closeLoop loopL finalLoop=1 tailLoop=0 */
s_sub_u32 s[sgprLoopCounterL], s[sgprLoopCounterL], 1 // dec counterL
s_cmp_eq_i32 s[sgprLoopCounterL], 0x1              // counterL==1
s_cbranch_scc0 LoopBeginL_1                        // restart LoopL
LoopEndL_evenexit_4: // unroll loop eveniter exit
s_branch LoopEndL_2                                // exit unroll loopL (and skip second exit code)
LoopEndL_oddexit_3: // unroll loop odditer exit

/* Select high bank of LDS */
LoopEndL_2:


/* Before NLL: Check VGPR.checkin for INT8 LW */


/******************************************/
/* Opt. NoLoadLoop Without PAP - Begin                                      */
/******************************************/

s_cmpk_eq_u32 s[sgprBeta], 0x0                     // Beta == 0
s_cbranch_scc0 OptNLL_End_15                       // Branch if Beta is not zero

s_cmp_eq_u32 s[sgprAlpha], 1.0                     // Alpha == 1.0 ?
s_cbranch_scc0 OptNLL_End_15                       // branch if alpha != 1

s_mov_b32 s87, 0x0                                 // STATIC_DIV: divisior=96
s_mul_i32 s86, 0x555, s[sgprSizeI]                 // tmp1 = dividend * magic hi
s_lshl_b64 s[86:87], s[86:87], 0x10                // left shift 16 bits
s_mul_i32 s85, s[sgprSizeI], 0x5556                // tmp0 = dividend * magic lo
s_add_u32 s86, s85, s86                            // add lo
s_addc_u32 s87, s87, 0x0                           // add hi
s_lshr_b64 s[86:87], s[86:87], 0x21                // tmp1 = (dividend * magic) << shift
s_mov_b32 s85, s86                                 // quotient
s_mul_i32 s86, s85, 0x60                           // quotient*divisor
s_sub_u32 s84, s[sgprSizeI], s86                   // rReg = dividend - quotient*divisor
s_add_u32 s85, -0x1, s[sgprNumWorkGroups0]         // 
s_cmp_ge_u32 s[sgprWorkGroup0], s85                // wg0 >= nwg0-1 ?
s_cselect_b32 s84, s84, 0                          // set rMT0
s_cmpk_gt_u32 s84, 0x0                             // rMT0 > 0
s_cbranch_scc1 OptNLL_End_15                       // jump if edges required
s_and_b32 s84, 127, s[sgprSizeJ]                   // s84 = s[sgprSizeJ] % 128
s_add_u32 s85, -0x1, s[sgprNumWorkGroups1]         // 
s_cmp_ge_u32 s[sgprWorkGroup1], s85                // wg1 >= nwg1-1
s_cselect_b32 s84, s84, 0                          // set rMT1
s_cmpk_gt_u32 s84, 0x0                             // rMT1 > 0
s_cbranch_scc1 OptNLL_End_15                       // jump if edges required

s_and_b32 s85, 31, s[sgprSizesSum+0]               // s85 = s[sgprSizesSum+0] % 32
s_cmp_eq_u32 s85, 0x0                              // numIterL == 0
s_cbranch_scc0 OptNLL_End_15                       // skip if tail loop required


	;; [unrolled: 1-line block ×3, first 2 shown]
/* iter 0 (last unrolled loop) */

/*  grEndMfmaIndex:0, lwStartMfmaIndex:88, lwEndMfmaIndex:88  */
/*  numMfmaForLR:4, barrierMfmaIndex:91 */
/*  mfmaIndex:0  */
s_waitcnt lgkmcnt(0)                               // lgkmcnt=0 vmcnt=-1wait for prior local read local write old=0, new=0 newLW=0 newLR=0
v_mfma_f32_16x16x4_f32 a[0+0:3+0], v[vgprValuA_X0_I0+0+0+0], v[vgprValuB_X0_I0+0+0+0], a[0:3]
/*  mfmaIndex:1  */
_ds_load_b32 v[vgprValuA_X1_I0+0], v[vgprLocalReadAddrA] offset:1792 // L -> Reg lro=448 swapByteOffset=0 ti=32 vIdx=0 rIdx=0 oIdx=0 buffer=1 iui=0
_ds_load_b32 v[vgprValuB_X1_I0+0], v[vgprLocalReadAddrB] offset:16 // L -> Reg lro=4 swapByteOffset=0 ti=64 vIdx=0 rIdx=0 oIdx=0 buffer=1 iui=0
v_mfma_f32_16x16x4_f32 a[4+0:7+0], v[vgprValuA_X0_I0+1+0+0], v[vgprValuB_X0_I0+0+0+0], a[4:7]
/*  mfmaIndex:2  */
_ds_load_b32 v[vgprValuA_X1_I0+1], v[vgprLocalReadAddrA] offset:1920 // L -> Reg lro=448 swapByteOffset=0 ti=32 vIdx=1 rIdx=0 oIdx=0 buffer=1 iui=0
_ds_load_b32 v[vgprValuA_X1_I0+2], v[vgprLocalReadAddrA] offset:2048 // L -> Reg lro=448 swapByteOffset=0 ti=32 vIdx=2 rIdx=0 oIdx=0 buffer=1 iui=0
v_mfma_f32_16x16x4_f32 a[8+0:11+0], v[vgprValuA_X0_I0+2+0+0], v[vgprValuB_X0_I0+0+0+0], a[8:11]
/*  mfmaIndex:3  */
_ds_load_b32 v[vgprValuB_X1_I0+1], v[vgprLocalReadAddrB] offset:144 // L -> Reg lro=4 swapByteOffset=0 ti=64 vIdx=0 rIdx=0 oIdx=0 buffer=1 iui=0
_ds_load_b32 v[vgprValuB_X1_I0+2], v[vgprLocalReadAddrB] offset:8464 // L -> Reg lro=4 swapByteOffset=0 ti=64 vIdx=1 rIdx=0 oIdx=0 buffer=1 iui=0
v_mfma_f32_16x16x4_f32 a[20+0:23+0], v[vgprValuA_X0_I0+2+0+0], v[vgprValuB_X0_I0+1+0+0], a[20:23]
/*  mfmaIndex:4  */
_ds_load_b32 v[vgprValuB_X1_I0+3], v[vgprLocalReadAddrB] offset:8592 // L -> Reg lro=4 swapByteOffset=0 ti=64 vIdx=1 rIdx=0 oIdx=0 buffer=1 iui=0
/* localReadsVacancy: latencyLeft 3 */
_ds_load_b32 v[vgprValuA_X2_I0+0], v[vgprLocalReadAddrA] offset:3584 // L -> Reg lro=896 swapByteOffset=0 ti=32 vIdx=0 rIdx=0 oIdx=0 buffer=2 iui=0
v_mfma_f32_16x16x4_f32 a[16+0:19+0], v[vgprValuA_X0_I0+1+0+0], v[vgprValuB_X0_I0+1+0+0], a[16:19]
/*  mfmaIndex:5  */
/* localReadsVacancy: latencyLeft 5 */
_ds_load_b32 v[vgprValuB_X2_I0+0], v[vgprLocalReadAddrB] offset:32 // L -> Reg lro=8 swapByteOffset=0 ti=64 vIdx=0 rIdx=0 oIdx=0 buffer=2 iui=0
_ds_load_b32 v[vgprValuA_X2_I0+1], v[vgprLocalReadAddrA] offset:3712 // L -> Reg lro=896 swapByteOffset=0 ti=32 vIdx=1 rIdx=0 oIdx=0 buffer=2 iui=0
v_mfma_f32_16x16x4_f32 a[12+0:15+0], v[vgprValuA_X0_I0+0+0+0], v[vgprValuB_X0_I0+1+0+0], a[12:15]
/*  mfmaIndex:6  */
/* localReadsVacancy: latencyLeft 5 */
_ds_load_b32 v[vgprValuA_X2_I0+2], v[vgprLocalReadAddrA] offset:3840 // L -> Reg lro=896 swapByteOffset=0 ti=32 vIdx=2 rIdx=0 oIdx=0 buffer=2 iui=0
_ds_load_b32 v[vgprValuB_X2_I0+1], v[vgprLocalReadAddrB] offset:160 // L -> Reg lro=8 swapByteOffset=0 ti=64 vIdx=0 rIdx=0 oIdx=0 buffer=2 iui=0
v_mfma_f32_16x16x4_f32 a[24+0:27+0], v[vgprValuA_X0_I0+0+0+0], v[vgprValuB_X0_I0+2+0+0], a[24:27]
/*  mfmaIndex:7  */
/* localReadsVacancy: latencyLeft 5 */
_ds_load_b32 v[vgprValuB_X2_I0+2], v[vgprLocalReadAddrB] offset:8480 // L -> Reg lro=8 swapByteOffset=0 ti=64 vIdx=1 rIdx=0 oIdx=0 buffer=2 iui=0
_ds_load_b32 v[vgprValuB_X2_I0+3], v[vgprLocalReadAddrB] offset:8608 // L -> Reg lro=8 swapByteOffset=0 ti=64 vIdx=1 rIdx=0 oIdx=0 buffer=2 iui=0
v_mfma_f32_16x16x4_f32 a[28+0:31+0], v[vgprValuA_X0_I0+1+0+0], v[vgprValuB_X0_I0+2+0+0], a[28:31]
/*  mfmaIndex:8  */
/* localReadsVacancy: latencyLeft 5 */
_ds_load_b32 v[vgprValuA_X3_I0+0], v[vgprLocalReadAddrA] offset:5376 // L -> Reg lro=1344 swapByteOffset=0 ti=32 vIdx=0 rIdx=0 oIdx=0 buffer=3 iui=0
_ds_load_b32 v[vgprValuB_X3_I0+0], v[vgprLocalReadAddrB] offset:48 // L -> Reg lro=12 swapByteOffset=0 ti=64 vIdx=0 rIdx=0 oIdx=0 buffer=3 iui=0
v_mfma_f32_16x16x4_f32 a[32+0:35+0], v[vgprValuA_X0_I0+2+0+0], v[vgprValuB_X0_I0+2+0+0], a[32:35]
/*  mfmaIndex:9  */
/* localReadsVacancy: latencyLeft 5 */
_ds_load_b32 v[vgprValuA_X3_I0+1], v[vgprLocalReadAddrA] offset:5504 // L -> Reg lro=1344 swapByteOffset=0 ti=32 vIdx=1 rIdx=0 oIdx=0 buffer=3 iui=0
_ds_load_b32 v[vgprValuA_X3_I0+2], v[vgprLocalReadAddrA] offset:5632 // L -> Reg lro=1344 swapByteOffset=0 ti=32 vIdx=2 rIdx=0 oIdx=0 buffer=3 iui=0
v_mfma_f32_16x16x4_f32 a[44+0:47+0], v[vgprValuA_X0_I0+2+0+0], v[vgprValuB_X0_I0+3+0+0], a[44:47]
/*  mfmaIndex:10  */
/* localReadsVacancy: latencyLeft 5 */
_ds_load_b32 v[vgprValuB_X3_I0+1], v[vgprLocalReadAddrB] offset:176 // L -> Reg lro=12 swapByteOffset=0 ti=64 vIdx=0 rIdx=0 oIdx=0 buffer=3 iui=0
_ds_load_b32 v[vgprValuB_X3_I0+2], v[vgprLocalReadAddrB] offset:8496 // L -> Reg lro=12 swapByteOffset=0 ti=64 vIdx=1 rIdx=0 oIdx=0 buffer=3 iui=0
v_mfma_f32_16x16x4_f32 a[40+0:43+0], v[vgprValuA_X0_I0+1+0+0], v[vgprValuB_X0_I0+3+0+0], a[40:43]
/*  mfmaIndex:11  */
/* localReadsVacancy: latencyLeft 5 */
_ds_load_b32 v[vgprValuB_X3_I0+3], v[vgprLocalReadAddrB] offset:8624 // L -> Reg lro=12 swapByteOffset=0 ti=64 vIdx=1 rIdx=0 oIdx=0 buffer=3 iui=0
_ds_load_b32 v[vgprValuA_X4_I0+0], v[vgprLocalReadAddrA] offset:7168 // L -> Reg lro=1792 swapByteOffset=0 ti=32 vIdx=0 rIdx=0 oIdx=0 buffer=4 iui=0
v_mfma_f32_16x16x4_f32 a[36+0:39+0], v[vgprValuA_X0_I0+0+0+0], v[vgprValuB_X0_I0+3+0+0], a[36:39]
/* numPrefetchIter=0 */
/* dataAtIterA=-1 numReadsIterA=1 skipReadsIterA=1 readsPerIterA=3 */
/* dataAtIterB=-1 numReadsIterB=1 skipReadsIterB=1 readsPerIterB=4 */


/* iter 1 (last unrolled loop) */

/*  grEndMfmaIndex:0, lwStartMfmaIndex:88, lwEndMfmaIndex:88  */
/*  numMfmaForLR:4, barrierMfmaIndex:91 */
/*  mfmaIndex:12  */
/* localReadsVacancy: latencyLeft 5 */
_ds_load_b32 v[vgprValuB_X4_I0+0], v[vgprLocalReadAddrB] offset:64 // L -> Reg lro=16 swapByteOffset=0 ti=64 vIdx=0 rIdx=0 oIdx=0 buffer=4 iui=0
_ds_load_b32 v[vgprValuA_X4_I0+1], v[vgprLocalReadAddrA] offset:7296 // L -> Reg lro=1792 swapByteOffset=0 ti=32 vIdx=1 rIdx=0 oIdx=0 buffer=4 iui=0
s_waitcnt lgkmcnt(15)                              // lgkmcnt=0 vmcnt=-1wait for prior local read local write old=7, new=7 newLW=0 newLR=0
v_mfma_f32_16x16x4_f32 a[0+0:3+0], v[vgprValuA_X1_I0+0+0+0], v[vgprValuB_X1_I0+0+0+0], a[0:3]
/*  mfmaIndex:13  */
/* localReadsVacancy: latencyLeft 5 */
_ds_load_b32 v[vgprValuA_X4_I0+2], v[vgprLocalReadAddrA] offset:7424 // L -> Reg lro=1792 swapByteOffset=0 ti=32 vIdx=2 rIdx=0 oIdx=0 buffer=4 iui=0
_ds_load_b32 v[vgprValuB_X4_I0+1], v[vgprLocalReadAddrB] offset:192 // L -> Reg lro=16 swapByteOffset=0 ti=64 vIdx=0 rIdx=0 oIdx=0 buffer=4 iui=0
v_mfma_f32_16x16x4_f32 a[4+0:7+0], v[vgprValuA_X1_I0+1+0+0], v[vgprValuB_X1_I0+0+0+0], a[4:7]
/*  mfmaIndex:14  */
/* localReadsVacancy: latencyLeft 5 */
_ds_load_b32 v[vgprValuB_X4_I0+2], v[vgprLocalReadAddrB] offset:8512 // L -> Reg lro=16 swapByteOffset=0 ti=64 vIdx=1 rIdx=0 oIdx=0 buffer=4 iui=0
_ds_load_b32 v[vgprValuB_X4_I0+3], v[vgprLocalReadAddrB] offset:8640 // L -> Reg lro=16 swapByteOffset=0 ti=64 vIdx=1 rIdx=0 oIdx=0 buffer=4 iui=0
v_mfma_f32_16x16x4_f32 a[8+0:11+0], v[vgprValuA_X1_I0+2+0+0], v[vgprValuB_X1_I0+0+0+0], a[8:11]
/*  mfmaIndex:15  */
/* localReadsVacancy: latencyLeft 5 */
_ds_load_b32 v[vgprValuA_X5_I0+0], v[vgprLocalReadAddrA] offset:8960 // L -> Reg lro=2240 swapByteOffset=0 ti=32 vIdx=0 rIdx=0 oIdx=0 buffer=5 iui=0
_ds_load_b32 v[vgprValuB_X5_I0+0], v[vgprLocalReadAddrB] offset:80 // L -> Reg lro=20 swapByteOffset=0 ti=64 vIdx=0 rIdx=0 oIdx=0 buffer=5 iui=0
v_mfma_f32_16x16x4_f32 a[20+0:23+0], v[vgprValuA_X1_I0+2+0+0], v[vgprValuB_X1_I0+1+0+0], a[20:23]
/*  mfmaIndex:16  */
/* localReadsVacancy: latencyLeft 5 */
_ds_load_b32 v[vgprValuA_X5_I0+1], v[vgprLocalReadAddrA] offset:9088 // L -> Reg lro=2240 swapByteOffset=0 ti=32 vIdx=1 rIdx=0 oIdx=0 buffer=5 iui=0
_ds_load_b32 v[vgprValuA_X5_I0+2], v[vgprLocalReadAddrA] offset:9216 // L -> Reg lro=2240 swapByteOffset=0 ti=32 vIdx=2 rIdx=0 oIdx=0 buffer=5 iui=0
v_mfma_f32_16x16x4_f32 a[16+0:19+0], v[vgprValuA_X1_I0+1+0+0], v[vgprValuB_X1_I0+1+0+0], a[16:19]
/*  mfmaIndex:17  */
/* localReadsVacancy: latencyLeft 5 */
_ds_load_b32 v[vgprValuB_X5_I0+1], v[vgprLocalReadAddrB] offset:208 // L -> Reg lro=20 swapByteOffset=0 ti=64 vIdx=0 rIdx=0 oIdx=0 buffer=5 iui=0
_ds_load_b32 v[vgprValuB_X5_I0+2], v[vgprLocalReadAddrB] offset:8528 // L -> Reg lro=20 swapByteOffset=0 ti=64 vIdx=1 rIdx=0 oIdx=0 buffer=5 iui=0
v_mfma_f32_16x16x4_f32 a[12+0:15+0], v[vgprValuA_X1_I0+0+0+0], v[vgprValuB_X1_I0+1+0+0], a[12:15]
/*  mfmaIndex:18  */
/* localReadsVacancy: latencyLeft 5 */
_ds_load_b32 v[vgprValuB_X5_I0+3], v[vgprLocalReadAddrB] offset:8656 // L -> Reg lro=20 swapByteOffset=0 ti=64 vIdx=1 rIdx=0 oIdx=0 buffer=5 iui=0
_ds_load_b32 v[vgprValuA_X6_I0+0], v[vgprLocalReadAddrA] offset:10752 // L -> Reg lro=2688 swapByteOffset=0 ti=32 vIdx=0 rIdx=0 oIdx=0 buffer=6 iui=0
v_mfma_f32_16x16x4_f32 a[24+0:27+0], v[vgprValuA_X1_I0+0+0+0], v[vgprValuB_X1_I0+2+0+0], a[24:27]
/*  mfmaIndex:19  */
/* localReadsVacancy: latencyLeft 5 */
_ds_load_b32 v[vgprValuB_X6_I0+0], v[vgprLocalReadAddrB] offset:96 // L -> Reg lro=24 swapByteOffset=0 ti=64 vIdx=0 rIdx=0 oIdx=0 buffer=6 iui=0
_ds_load_b32 v[vgprValuA_X6_I0+1], v[vgprLocalReadAddrA] offset:10880 // L -> Reg lro=2688 swapByteOffset=0 ti=32 vIdx=1 rIdx=0 oIdx=0 buffer=6 iui=0
v_mfma_f32_16x16x4_f32 a[28+0:31+0], v[vgprValuA_X1_I0+1+0+0], v[vgprValuB_X1_I0+2+0+0], a[28:31]
/*  mfmaIndex:20  */
/* localReadsVacancy: latencyLeft 5 */
_ds_load_b32 v[vgprValuA_X6_I0+2], v[vgprLocalReadAddrA] offset:11008 // L -> Reg lro=2688 swapByteOffset=0 ti=32 vIdx=2 rIdx=0 oIdx=0 buffer=6 iui=0
_ds_load_b32 v[vgprValuB_X6_I0+1], v[vgprLocalReadAddrB] offset:224 // L -> Reg lro=24 swapByteOffset=0 ti=64 vIdx=0 rIdx=0 oIdx=0 buffer=6 iui=0
v_mfma_f32_16x16x4_f32 a[32+0:35+0], v[vgprValuA_X1_I0+2+0+0], v[vgprValuB_X1_I0+2+0+0], a[32:35]
/*  mfmaIndex:21  */
/* localReadsVacancy: latencyLeft 5 */
_ds_load_b32 v[vgprValuB_X6_I0+2], v[vgprLocalReadAddrB] offset:8544 // L -> Reg lro=24 swapByteOffset=0 ti=64 vIdx=1 rIdx=0 oIdx=0 buffer=6 iui=0
_ds_load_b32 v[vgprValuB_X6_I0+3], v[vgprLocalReadAddrB] offset:8672 // L -> Reg lro=24 swapByteOffset=0 ti=64 vIdx=1 rIdx=0 oIdx=0 buffer=6 iui=0
v_mfma_f32_16x16x4_f32 a[44+0:47+0], v[vgprValuA_X1_I0+2+0+0], v[vgprValuB_X1_I0+3+0+0], a[44:47]
/*  mfmaIndex:22  */
/* localReadsVacancy: latencyLeft 5 */
_ds_load_b32 v[vgprValuA_X7_I0+0], v[vgprLocalReadAddrA] offset:12544 // L -> Reg lro=3136 swapByteOffset=0 ti=32 vIdx=0 rIdx=0 oIdx=0 buffer=7 iui=0
_ds_load_b32 v[vgprValuB_X7_I0+0], v[vgprLocalReadAddrB] offset:112 // L -> Reg lro=28 swapByteOffset=0 ti=64 vIdx=0 rIdx=0 oIdx=0 buffer=7 iui=0
v_mfma_f32_16x16x4_f32 a[40+0:43+0], v[vgprValuA_X1_I0+1+0+0], v[vgprValuB_X1_I0+3+0+0], a[40:43]
/*  mfmaIndex:23  */
/* localReadsVacancy: latencyLeft 5 */
_ds_load_b32 v[vgprValuA_X7_I0+1], v[vgprLocalReadAddrA] offset:12672 // L -> Reg lro=3136 swapByteOffset=0 ti=32 vIdx=1 rIdx=0 oIdx=0 buffer=7 iui=0
_ds_load_b32 v[vgprValuA_X7_I0+2], v[vgprLocalReadAddrA] offset:12800 // L -> Reg lro=3136 swapByteOffset=0 ti=32 vIdx=2 rIdx=0 oIdx=0 buffer=7 iui=0
v_mfma_f32_16x16x4_f32 a[36+0:39+0], v[vgprValuA_X1_I0+0+0+0], v[vgprValuB_X1_I0+3+0+0], a[36:39]
/* numPrefetchIter=0 */
/* dataAtIterA=0 numReadsIterA=2 skipReadsIterA=1 readsPerIterA=3 */
/* dataAtIterB=0 numReadsIterB=2 skipReadsIterB=1 readsPerIterB=4 */


/* iter 2 (last unrolled loop) */

/*  grEndMfmaIndex:0, lwStartMfmaIndex:88, lwEndMfmaIndex:88  */
/*  numMfmaForLR:4, barrierMfmaIndex:91 */
/*  mfmaIndex:24  */
/* localReadsVacancy: latencyLeft 5 */
_ds_load_b32 v[vgprValuB_X7_I0+1], v[vgprLocalReadAddrB] offset:240 // L -> Reg lro=28 swapByteOffset=0 ti=64 vIdx=0 rIdx=0 oIdx=0 buffer=7 iui=0
_ds_load_b32 v[vgprValuB_X7_I0+2], v[vgprLocalReadAddrB] offset:8560 // L -> Reg lro=28 swapByteOffset=0 ti=64 vIdx=1 rIdx=0 oIdx=0 buffer=7 iui=0
s_waitcnt lgkmcnt(15)                              // lgkmcnt=0 vmcnt=-1wait for prior local read local write old=0, new=0 newLW=0 newLR=0
v_mfma_f32_16x16x4_f32 a[0+0:3+0], v[vgprValuA_X2_I0+0+0+0], v[vgprValuB_X2_I0+0+0+0], a[0:3]
/*  mfmaIndex:25  */
/* localReadsVacancy: latencyLeft 5 */
_ds_load_b32 v[vgprValuB_X7_I0+3], v[vgprLocalReadAddrB] offset:8688 // L -> Reg lro=28 swapByteOffset=0 ti=64 vIdx=1 rIdx=0 oIdx=0 buffer=7 iui=0
v_mfma_f32_16x16x4_f32 a[4+0:7+0], v[vgprValuA_X2_I0+1+0+0], v[vgprValuB_X2_I0+0+0+0], a[4:7]
/*  mfmaIndex:26  */
/* localReadsVacancy: latencyLeft 5 */
v_mfma_f32_16x16x4_f32 a[8+0:11+0], v[vgprValuA_X2_I0+2+0+0], v[vgprValuB_X2_I0+0+0+0], a[8:11]
/*  mfmaIndex:27  */
/* localReadsVacancy: latencyLeft 5 */
	;; [unrolled: 3-line block ×10, first 2 shown]
v_mfma_f32_16x16x4_f32 a[36+0:39+0], v[vgprValuA_X2_I0+0+0+0], v[vgprValuB_X2_I0+3+0+0], a[36:39]
/* numPrefetchIter=0 */
/* dataAtIterA=1 numReadsIterA=3 skipReadsIterA=1 readsPerIterA=3 */
/* dataAtIterB=1 numReadsIterB=3 skipReadsIterB=1 readsPerIterB=4 */


/* iter 3 (last unrolled loop) */

/*  grEndMfmaIndex:0, lwStartMfmaIndex:88, lwEndMfmaIndex:88  */
/*  numMfmaForLR:4, barrierMfmaIndex:91 */
/*  mfmaIndex:36  */
/* localReadsVacancy: latencyLeft 5 */
s_waitcnt lgkmcnt(15)                              // lgkmcnt=0 vmcnt=-1wait for prior local read local write old=6, new=6 newLW=0 newLR=0
v_mfma_f32_16x16x4_f32 a[0+0:3+0], v[vgprValuA_X3_I0+0+0+0], v[vgprValuB_X3_I0+0+0+0], a[0:3]
/*  mfmaIndex:37  */
/* localReadsVacancy: latencyLeft 5 */
v_mfma_f32_16x16x4_f32 a[4+0:7+0], v[vgprValuA_X3_I0+1+0+0], v[vgprValuB_X3_I0+0+0+0], a[4:7]
/*  mfmaIndex:38  */
/* localReadsVacancy: latencyLeft 5 */
v_mfma_f32_16x16x4_f32 a[8+0:11+0], v[vgprValuA_X3_I0+2+0+0], v[vgprValuB_X3_I0+0+0+0], a[8:11]
/*  mfmaIndex:39  */
/* localReadsVacancy: latencyLeft 5 */
v_mfma_f32_16x16x4_f32 a[20+0:23+0], v[vgprValuA_X3_I0+2+0+0], v[vgprValuB_X3_I0+1+0+0], a[20:23]
/*  mfmaIndex:40  */
/* localReadsVacancy: latencyLeft 5 */
v_mfma_f32_16x16x4_f32 a[16+0:19+0], v[vgprValuA_X3_I0+1+0+0], v[vgprValuB_X3_I0+1+0+0], a[16:19]
/*  mfmaIndex:41  */
/* localReadsVacancy: latencyLeft 5 */
v_mfma_f32_16x16x4_f32 a[12+0:15+0], v[vgprValuA_X3_I0+0+0+0], v[vgprValuB_X3_I0+1+0+0], a[12:15]
/*  mfmaIndex:42  */
/* localReadsVacancy: latencyLeft 5 */
v_mfma_f32_16x16x4_f32 a[24+0:27+0], v[vgprValuA_X3_I0+0+0+0], v[vgprValuB_X3_I0+2+0+0], a[24:27]
/*  mfmaIndex:43  */
/* localReadsVacancy: latencyLeft 5 */
v_mfma_f32_16x16x4_f32 a[28+0:31+0], v[vgprValuA_X3_I0+1+0+0], v[vgprValuB_X3_I0+2+0+0], a[28:31]
/*  mfmaIndex:44  */
/* localReadsVacancy: latencyLeft 5 */
v_mfma_f32_16x16x4_f32 a[32+0:35+0], v[vgprValuA_X3_I0+2+0+0], v[vgprValuB_X3_I0+2+0+0], a[32:35]
/*  mfmaIndex:45  */
/* localReadsVacancy: latencyLeft 5 */
v_mfma_f32_16x16x4_f32 a[44+0:47+0], v[vgprValuA_X3_I0+2+0+0], v[vgprValuB_X3_I0+3+0+0], a[44:47]
/*  mfmaIndex:46  */
/* localReadsVacancy: latencyLeft 5 */
v_mfma_f32_16x16x4_f32 a[40+0:43+0], v[vgprValuA_X3_I0+1+0+0], v[vgprValuB_X3_I0+3+0+0], a[40:43]
/*  mfmaIndex:47  */
/* localReadsVacancy: latencyLeft 5 */
v_mfma_f32_16x16x4_f32 a[36+0:39+0], v[vgprValuA_X3_I0+0+0+0], v[vgprValuB_X3_I0+3+0+0], a[36:39]
/* numPrefetchIter=0 */
/* dataAtIterA=2 numReadsIterA=4 skipReadsIterA=1 readsPerIterA=3 */
/* dataAtIterB=2 numReadsIterB=4 skipReadsIterB=1 readsPerIterB=4 */


/* iter 4 (last unrolled loop) */

/*  grEndMfmaIndex:0, lwStartMfmaIndex:88, lwEndMfmaIndex:88  */
/*  numMfmaForLR:4, barrierMfmaIndex:91 */
/*  mfmaIndex:48  */
/* localReadsVacancy: latencyLeft 5 */
s_waitcnt lgkmcnt(15)                              // lgkmcnt=0 vmcnt=-1wait for prior local read local write old=7, new=7 newLW=0 newLR=0
v_mfma_f32_16x16x4_f32 a[0+0:3+0], v[vgprValuA_X4_I0+0+0+0], v[vgprValuB_X4_I0+0+0+0], a[0:3]
/*  mfmaIndex:49  */
/* localReadsVacancy: latencyLeft 5 */
v_mfma_f32_16x16x4_f32 a[4+0:7+0], v[vgprValuA_X4_I0+1+0+0], v[vgprValuB_X4_I0+0+0+0], a[4:7]
/*  mfmaIndex:50  */
/* localReadsVacancy: latencyLeft 5 */
	;; [unrolled: 3-line block ×11, first 2 shown]
v_mfma_f32_16x16x4_f32 a[36+0:39+0], v[vgprValuA_X4_I0+0+0+0], v[vgprValuB_X4_I0+3+0+0], a[36:39]
/* numPrefetchIter=0 */
/* dataAtIterA=3 numReadsIterA=5 skipReadsIterA=1 readsPerIterA=3 */
/* dataAtIterB=3 numReadsIterB=5 skipReadsIterB=1 readsPerIterB=4 */


/* iter 5 (last unrolled loop) */

/*  grEndMfmaIndex:0, lwStartMfmaIndex:88, lwEndMfmaIndex:88  */
/*  numMfmaForLR:4, barrierMfmaIndex:91 */
/*  mfmaIndex:60  */
/* localReadsVacancy: latencyLeft 5 */
s_waitcnt lgkmcnt(14)                              // lgkmcnt=0 vmcnt=-1wait for prior local read local write old=7, new=7 newLW=0 newLR=0
v_mfma_f32_16x16x4_f32 a[0+0:3+0], v[vgprValuA_X5_I0+0+0+0], v[vgprValuB_X5_I0+0+0+0], a[0:3]
/*  mfmaIndex:61  */
/* localReadsVacancy: latencyLeft 5 */
v_mfma_f32_16x16x4_f32 a[4+0:7+0], v[vgprValuA_X5_I0+1+0+0], v[vgprValuB_X5_I0+0+0+0], a[4:7]
/*  mfmaIndex:62  */
/* localReadsVacancy: latencyLeft 5 */
	;; [unrolled: 3-line block ×11, first 2 shown]
v_mfma_f32_16x16x4_f32 a[36+0:39+0], v[vgprValuA_X5_I0+0+0+0], v[vgprValuB_X5_I0+3+0+0], a[36:39]
/* numPrefetchIter=0 */
/* dataAtIterA=4 numReadsIterA=6 skipReadsIterA=1 readsPerIterA=3 */
/* dataAtIterB=4 numReadsIterB=6 skipReadsIterB=1 readsPerIterB=4 */


/* iter 6 (last unrolled loop) */

/*  grEndMfmaIndex:0, lwStartMfmaIndex:88, lwEndMfmaIndex:88  */
/*  numMfmaForLR:4, barrierMfmaIndex:91 */
/*  mfmaIndex:72  */
/* localReadsVacancy: latencyLeft 5 */
s_waitcnt lgkmcnt(7)                               // lgkmcnt=0 vmcnt=-1wait for prior local read local write old=7, new=7 newLW=0 newLR=0
v_mfma_f32_16x16x4_f32 a[0+0:3+0], v[vgprValuA_X6_I0+0+0+0], v[vgprValuB_X6_I0+0+0+0], a[0:3]
/*  mfmaIndex:73  */
/* localReadsVacancy: latencyLeft 5 */
v_mfma_f32_16x16x4_f32 a[4+0:7+0], v[vgprValuA_X6_I0+1+0+0], v[vgprValuB_X6_I0+0+0+0], a[4:7]
/*  mfmaIndex:74  */
/* localReadsVacancy: latencyLeft 5 */
v_mfma_f32_16x16x4_f32 a[8+0:11+0], v[vgprValuA_X6_I0+2+0+0], v[vgprValuB_X6_I0+0+0+0], a[8:11]
/*  mfmaIndex:75  */
/* localReadsVacancy: latencyLeft 5 */
v_mfma_f32_16x16x4_f32 a[20+0:23+0], v[vgprValuA_X6_I0+2+0+0], v[vgprValuB_X6_I0+1+0+0], a[20:23]
/*  mfmaIndex:76  */
/* localReadsVacancy: latencyLeft 5 */
v_mfma_f32_16x16x4_f32 a[16+0:19+0], v[vgprValuA_X6_I0+1+0+0], v[vgprValuB_X6_I0+1+0+0], a[16:19]
/*  mfmaIndex:77  */
/* localReadsVacancy: latencyLeft 5 */
v_mfma_f32_16x16x4_f32 a[12+0:15+0], v[vgprValuA_X6_I0+0+0+0], v[vgprValuB_X6_I0+1+0+0], a[12:15]
/*  mfmaIndex:78  */
/* localReadsVacancy: latencyLeft 5 */
v_mfma_f32_16x16x4_f32 a[24+0:27+0], v[vgprValuA_X6_I0+0+0+0], v[vgprValuB_X6_I0+2+0+0], a[24:27]
/*  mfmaIndex:79  */
/* localReadsVacancy: latencyLeft 5 */
v_mfma_f32_16x16x4_f32 a[28+0:31+0], v[vgprValuA_X6_I0+1+0+0], v[vgprValuB_X6_I0+2+0+0], a[28:31]
/*  mfmaIndex:80  */
/* localReadsVacancy: latencyLeft 5 */
v_mfma_f32_16x16x4_f32 a[32+0:35+0], v[vgprValuA_X6_I0+2+0+0], v[vgprValuB_X6_I0+2+0+0], a[32:35]
/*  mfmaIndex:81  */
/* localReadsVacancy: latencyLeft 5 */
v_mfma_f32_16x16x4_f32 a[44+0:47+0], v[vgprValuA_X6_I0+2+0+0], v[vgprValuB_X6_I0+3+0+0], a[44:47]
/*  mfmaIndex:82  */
/* localReadsVacancy: latencyLeft 5 */
v_mfma_f32_16x16x4_f32 a[40+0:43+0], v[vgprValuA_X6_I0+1+0+0], v[vgprValuB_X6_I0+3+0+0], a[40:43]
/*  mfmaIndex:83  */
/* localReadsVacancy: latencyLeft 5 */
v_mfma_f32_16x16x4_f32 a[36+0:39+0], v[vgprValuA_X6_I0+0+0+0], v[vgprValuB_X6_I0+3+0+0], a[36:39]
/* numPrefetchIter=0 */
/* dataAtIterA=5 numReadsIterA=7 skipReadsIterA=1 readsPerIterA=3 */
/* dataAtIterB=5 numReadsIterB=7 skipReadsIterB=1 readsPerIterB=4 */


/* iter 7 (last unrolled loop) */

/*  grEndMfmaIndex:0, lwStartMfmaIndex:88, lwEndMfmaIndex:88  */
/*  numMfmaForLR:4, barrierMfmaIndex:91 */
/*  mfmaIndex:84  */
s_waitcnt lgkmcnt(0)                               // lgkmcnt=0 vmcnt=-1wait for prior local read local write old=0, new=0 newLW=0 newLR=0
v_mfma_f32_16x16x4_f32 a[0+0:3+0], v[vgprValuA_X7_I0+0+0+0], v[vgprValuB_X7_I0+0+0+0], a[0:3]
/*  mfmaIndex:85  */
v_mfma_f32_16x16x4_f32 a[4+0:7+0], v[vgprValuA_X7_I0+1+0+0], v[vgprValuB_X7_I0+0+0+0], a[4:7]
/*  mfmaIndex:86  */
	;; [unrolled: 2-line block ×3, first 2 shown]
/* 1 LDS buffer: read-sync-write */
s_waitcnt lgkmcnt(0)                               // 
s_barrier                                          // 
v_mfma_f32_16x16x4_f32 a[20+0:23+0], v[vgprValuA_X7_I0+2+0+0], v[vgprValuB_X7_I0+1+0+0], a[20:23]
/*  mfmaIndex:88  */
v_mfma_f32_16x16x4_f32 a[16+0:19+0], v[vgprValuA_X7_I0+1+0+0], v[vgprValuB_X7_I0+1+0+0], a[16:19]
/*  mfmaIndex:89  */
	;; [unrolled: 2-line block ×8, first 2 shown]
v_mfma_f32_16x16x4_f32 a[36+0:39+0], v[vgprValuA_X7_I0+0+0+0], v[vgprValuB_X7_I0+3+0+0], a[36:39]
/* numPrefetchIter=0 */
/* dataAtIterA=6 numReadsIterA=7 skipReadsIterA=0 readsPerIterA=3 */
/* dataAtIterB=6 numReadsIterB=7 skipReadsIterB=0 readsPerIterB=4 */

/* Stores for OptNLL */
Summation_End_OptNLL_16:
/* endSummation: add vgpr [0...88) to pool */
.set NumFullBlocks, UNDEF
.set WgmRemainder1, UNDEF
.set MagicNumberWgmRemainder1, UNDEF
.set ScalarGlobalReadOffsetA, UNDEF
.set ScalarGlobalReadOffsetB, UNDEF

/* Mapping of Acc register -> C Vgpr register */
/* computeStoreVgprs */
v_lshrrev_b32 v4, 6, v[vgprSerial]                 // v4 = v[vgprSerial] / 64
v_lshrrev_b32 v1, 1, v4                            // v1 = v4 / 2
v_mul_lo_u32 v1, 0x10, v1                          // wave coordination offset 1
v_and_b32 v5, 15, v[vgprSerial]                    // v5 = v[vgprSerial] % 16
_v_add_lshl_u32 v1, v5, v1, 1                      // coordination 1 = vwb *(wave_id1 + tid1)
v_mul_lo_u32 v2, v1, s[sgprStrideC1J]              //  offset 1
v_mul_lo_u32 v3, v1, s[sgprStrideD1J]              //  offset 1
v_and_b32 v0, 63, v[vgprSerial]                    // v0 = v[vgprSerial] % 64
v_lshrrev_b32 v0, 4, v0                            // v0 = v0 / 16
v_lshlrev_b32 v0, 0x2, v0                          // thread0 * continuous_output
v_and_b32 v5, 1, v4                                // v5 = v4 % 2
v_mul_lo_u32 v5, 0x10, v5                          // wave coordination offset 0
_v_add_lshl_u32 v0, v5, v0, 0                      // coordination 0 = vwa *(wave_id0 + tid0)
s_mul_i32 s53, 96, s[sgprWorkGroup0]               // wgp0 * MT0
_v_add_u32 v0, s53, v0                             // coord 0 = (tid0/MI_m)*4 + waveG0*MIB_m + MT0*SG0
s_mul_i32 s53, 128, s[sgprWorkGroup1]              // wgp1 * MT1
_v_add_u32 v1, s53, v1                             // coord 1 = (tid0%MI_m) + waveG1*MIB_n + MT1*SG1
GW_B0_E0_19:

/* edge=0, allocate 2 sgpr. perBatchTmpS=2 perBatchMaskS=0 perElementMaskS=0 elementsPerBatch=49 */
/* optSingleColVgpr=1 optSharedColVgpr=0 optSGPRUsage=BufferLoad_Mask optSrdIncForRow=1 */

/******************************************/
/* Global Write Batch #0 (d1,d0,vc1,vc0) = */
/*    (0,0,0,0:vw4); (0,1,0,0:vw4); (0,2,0,0:vw4); (0,0,1,0:vw4); (0,1,1,0:vw4); (0,2,1,0:vw4); (1,0,0,0:vw4); (1,1,0,0:vw4); (1,2,0,0:vw4); (1,0,1,0:vw4); (1,1,1,0:vw4); (1,2,1,0:vw4) */
/******************************************/

/* calc coords, apply mask, and issue loads (if necessary) */
/* (d1,vc1,d0,vc0)=(0,0,0,0) */
/* (d1,vc1,d0,vc0)=(0,0,1,0) */
	;; [unrolled: 1-line block ×12, first 2 shown]
_v_add_lshl_u32 v6, v3, v0, 0x2                    // optSingleColVgpr scaleToBpe: sharedAddrVgpr <- cinRowPtr + coord0, scaled by BPE. BSHERE:coord0=0, coord0Vgpr=0
v_accvgpr_read_b32 v[vgprValuC+8], acc0 // copy acc to vreg[0]
v_accvgpr_read_b32 v[vgprValuC+9], acc1 // copy acc to vreg[1]
v_accvgpr_read_b32 v[vgprValuC+10], acc2 // copy acc to vreg[2]
v_accvgpr_read_b32 v[vgprValuC+11], acc3 // copy acc to vreg[3]
v_accvgpr_read_b32 v[vgprValuC+12], acc4 // copy acc to vreg[4]
v_accvgpr_read_b32 v[vgprValuC+13], acc5 // copy acc to vreg[5]
v_accvgpr_read_b32 v[vgprValuC+14], acc6 // copy acc to vreg[6]
v_accvgpr_read_b32 v[vgprValuC+15], acc7 // copy acc to vreg[7]
v_accvgpr_read_b32 v[vgprValuC+16], acc8 // copy acc to vreg[8]
v_accvgpr_read_b32 v[vgprValuC+17], acc9 // copy acc to vreg[9]
v_accvgpr_read_b32 v[vgprValuC+18], acc10 // copy acc to vreg[10]
v_accvgpr_read_b32 v[vgprValuC+19], acc11 // copy acc to vreg[11]
v_accvgpr_read_b32 v[vgprValuC+20], acc12 // copy acc to vreg[12]
v_accvgpr_read_b32 v[vgprValuC+21], acc13 // copy acc to vreg[13]
v_accvgpr_read_b32 v[vgprValuC+22], acc14 // copy acc to vreg[14]
v_accvgpr_read_b32 v[vgprValuC+23], acc15 // copy acc to vreg[15]
v_accvgpr_read_b32 v[vgprValuC+24], acc16 // copy acc to vreg[16]
v_accvgpr_read_b32 v[vgprValuC+25], acc17 // copy acc to vreg[17]
v_accvgpr_read_b32 v[vgprValuC+26], acc18 // copy acc to vreg[18]
v_accvgpr_read_b32 v[vgprValuC+27], acc19 // copy acc to vreg[19]
v_accvgpr_read_b32 v[vgprValuC+28], acc20 // copy acc to vreg[20]
v_accvgpr_read_b32 v[vgprValuC+29], acc21 // copy acc to vreg[21]
v_accvgpr_read_b32 v[vgprValuC+30], acc22 // copy acc to vreg[22]
v_accvgpr_read_b32 v[vgprValuC+31], acc23 // copy acc to vreg[23]
v_accvgpr_read_b32 v[vgprValuC+32], acc24 // copy acc to vreg[24]
v_accvgpr_read_b32 v[vgprValuC+33], acc25 // copy acc to vreg[25]
v_accvgpr_read_b32 v[vgprValuC+34], acc26 // copy acc to vreg[26]
v_accvgpr_read_b32 v[vgprValuC+35], acc27 // copy acc to vreg[27]
v_accvgpr_read_b32 v[vgprValuC+36], acc28 // copy acc to vreg[28]
v_accvgpr_read_b32 v[vgprValuC+37], acc29 // copy acc to vreg[29]
v_accvgpr_read_b32 v[vgprValuC+38], acc30 // copy acc to vreg[30]
v_accvgpr_read_b32 v[vgprValuC+39], acc31 // copy acc to vreg[31]
v_accvgpr_read_b32 v[vgprValuC+40], acc32 // copy acc to vreg[32]
v_accvgpr_read_b32 v[vgprValuC+41], acc33 // copy acc to vreg[33]
v_accvgpr_read_b32 v[vgprValuC+42], acc34 // copy acc to vreg[34]
v_accvgpr_read_b32 v[vgprValuC+43], acc35 // copy acc to vreg[35]
v_accvgpr_read_b32 v[vgprValuC+44], acc36 // copy acc to vreg[36]
v_accvgpr_read_b32 v[vgprValuC+45], acc37 // copy acc to vreg[37]
v_accvgpr_read_b32 v[vgprValuC+46], acc38 // copy acc to vreg[38]
v_accvgpr_read_b32 v[vgprValuC+47], acc39 // copy acc to vreg[39]
v_accvgpr_read_b32 v[vgprValuC+48], acc40 // copy acc to vreg[40]
v_accvgpr_read_b32 v[vgprValuC+49], acc41 // copy acc to vreg[41]
v_accvgpr_read_b32 v[vgprValuC+50], acc42 // copy acc to vreg[42]
v_accvgpr_read_b32 v[vgprValuC+51], acc43 // copy acc to vreg[43]
v_accvgpr_read_b32 v[vgprValuC+52], acc44 // copy acc to vreg[44]
v_accvgpr_read_b32 v[vgprValuC+53], acc45 // copy acc to vreg[45]
v_accvgpr_read_b32 v[vgprValuC+54], acc46 // copy acc to vreg[46]
v_accvgpr_read_b32 v[vgprValuC+55], acc47 // copy acc to vreg[47]
s_nop 1                                            // 2 wait states required before reading vgpr

/* apply mask, calc new C and issue writes */
_buffer_store_b128 v[8:11], v6, s[sgprSrdD:sgprSrdD+3], 0, offen, offset:0 // store D
_buffer_store_b128 v[12:15], v6, s[sgprSrdD:sgprSrdD+3], 0, offen, offset:128 // store D
	;; [unrolled: 1-line block ×3, first 2 shown]
s_lshl_b32  s54, s[sgprStrideD1J], 2               // incToNextRow: Scale by BPE
s_add_u32  s[sgprSrdD+0], s[sgprSrdD+0], s54       // incToNextRow: gra SRD += inc(lower)
s_addc_u32  s[sgprSrdD+1], s[sgprSrdD+1], 0        // incToNextRow: gra SRD += inc(upper)
_buffer_store_b128 v[20:23], v6, s[sgprSrdD:sgprSrdD+3], 0, offen, offset:0 // store D
_buffer_store_b128 v[24:27], v6, s[sgprSrdD:sgprSrdD+3], 0, offen, offset:128 // store D
	;; [unrolled: 1-line block ×3, first 2 shown]
s_mul_i32 s54, s[sgprStrideD1J], 252               // scale StrideD *= numRows(63) * bpe
s_add_u32  s[sgprSrdD+0], s[sgprSrdD+0], s54       // incToNextRow: gra SRD += inc(lower)
s_addc_u32  s[sgprSrdD+1], s[sgprSrdD+1], 0        // incToNextRow: gra SRD += inc(upper)
_buffer_store_b128 v[32:35], v6, s[sgprSrdD:sgprSrdD+3], 0, offen, offset:0 // store D
_buffer_store_b128 v[36:39], v6, s[sgprSrdD:sgprSrdD+3], 0, offen, offset:128 // store D
	;; [unrolled: 1-line block ×3, first 2 shown]
s_lshl_b32  s54, s[sgprStrideD1J], 2               // incToNextRow: Scale by BPE
s_add_u32  s[sgprSrdD+0], s[sgprSrdD+0], s54       // incToNextRow: gra SRD += inc(lower)
s_addc_u32  s[sgprSrdD+1], s[sgprSrdD+1], 0        // incToNextRow: gra SRD += inc(upper)
_buffer_store_b128 v[44:47], v6, s[sgprSrdD:sgprSrdD+3], 0, offen, offset:0 // store D
_buffer_store_b128 v[48:51], v6, s[sgprSrdD:sgprSrdD+3], 0, offen, offset:128 // store D
	;; [unrolled: 1-line block ×3, first 2 shown]
s_nop 0                                            // 1 wait state required when next inst writes vgprs held by previous dwordx4 store inst
s_branch label_GW_End_21                           // jump to end
label_GW_End_21:

s_endpgm                                           // Kernel End
OptNLL_End_15:


/******************************************/
/* Ord. NoLoadLoop - Begin                                      */
/******************************************/


	;; [unrolled: 1-line block ×4, first 2 shown]
/* iter 0 (last unrolled loop) */

/*  grEndMfmaIndex:0, lwStartMfmaIndex:88, lwEndMfmaIndex:88  */
/*  numMfmaForLR:4, barrierMfmaIndex:91 */
/*  mfmaIndex:0  */
s_waitcnt lgkmcnt(0)                               // lgkmcnt=0 vmcnt=-1wait for prior local read local write old=0, new=0 newLW=0 newLR=0
v_mfma_f32_16x16x4_f32 a[0+0:3+0], v[vgprValuA_X0_I0+0+0+0], v[vgprValuB_X0_I0+0+0+0], a[0:3]
/*  mfmaIndex:1  */
_ds_load_b32 v[vgprValuA_X1_I0+0], v[vgprLocalReadAddrA] offset:1792 // L -> Reg lro=448 swapByteOffset=0 ti=32 vIdx=0 rIdx=0 oIdx=0 buffer=1 iui=0
_ds_load_b32 v[vgprValuB_X1_I0+0], v[vgprLocalReadAddrB] offset:16 // L -> Reg lro=4 swapByteOffset=0 ti=64 vIdx=0 rIdx=0 oIdx=0 buffer=1 iui=0
v_mfma_f32_16x16x4_f32 a[4+0:7+0], v[vgprValuA_X0_I0+1+0+0], v[vgprValuB_X0_I0+0+0+0], a[4:7]
/*  mfmaIndex:2  */
_ds_load_b32 v[vgprValuA_X1_I0+1], v[vgprLocalReadAddrA] offset:1920 // L -> Reg lro=448 swapByteOffset=0 ti=32 vIdx=1 rIdx=0 oIdx=0 buffer=1 iui=0
_ds_load_b32 v[vgprValuA_X1_I0+2], v[vgprLocalReadAddrA] offset:2048 // L -> Reg lro=448 swapByteOffset=0 ti=32 vIdx=2 rIdx=0 oIdx=0 buffer=1 iui=0
v_mfma_f32_16x16x4_f32 a[8+0:11+0], v[vgprValuA_X0_I0+2+0+0], v[vgprValuB_X0_I0+0+0+0], a[8:11]
/*  mfmaIndex:3  */
_ds_load_b32 v[vgprValuB_X1_I0+1], v[vgprLocalReadAddrB] offset:144 // L -> Reg lro=4 swapByteOffset=0 ti=64 vIdx=0 rIdx=0 oIdx=0 buffer=1 iui=0
_ds_load_b32 v[vgprValuB_X1_I0+2], v[vgprLocalReadAddrB] offset:8464 // L -> Reg lro=4 swapByteOffset=0 ti=64 vIdx=1 rIdx=0 oIdx=0 buffer=1 iui=0
v_mfma_f32_16x16x4_f32 a[20+0:23+0], v[vgprValuA_X0_I0+2+0+0], v[vgprValuB_X0_I0+1+0+0], a[20:23]
/*  mfmaIndex:4  */
_ds_load_b32 v[vgprValuB_X1_I0+3], v[vgprLocalReadAddrB] offset:8592 // L -> Reg lro=4 swapByteOffset=0 ti=64 vIdx=1 rIdx=0 oIdx=0 buffer=1 iui=0
/* localReadsVacancy: latencyLeft 3 */
_ds_load_b32 v[vgprValuA_X2_I0+0], v[vgprLocalReadAddrA] offset:3584 // L -> Reg lro=896 swapByteOffset=0 ti=32 vIdx=0 rIdx=0 oIdx=0 buffer=2 iui=0
v_mfma_f32_16x16x4_f32 a[16+0:19+0], v[vgprValuA_X0_I0+1+0+0], v[vgprValuB_X0_I0+1+0+0], a[16:19]
/*  mfmaIndex:5  */
/* localReadsVacancy: latencyLeft 5 */
_ds_load_b32 v[vgprValuB_X2_I0+0], v[vgprLocalReadAddrB] offset:32 // L -> Reg lro=8 swapByteOffset=0 ti=64 vIdx=0 rIdx=0 oIdx=0 buffer=2 iui=0
_ds_load_b32 v[vgprValuA_X2_I0+1], v[vgprLocalReadAddrA] offset:3712 // L -> Reg lro=896 swapByteOffset=0 ti=32 vIdx=1 rIdx=0 oIdx=0 buffer=2 iui=0
v_mfma_f32_16x16x4_f32 a[12+0:15+0], v[vgprValuA_X0_I0+0+0+0], v[vgprValuB_X0_I0+1+0+0], a[12:15]
/*  mfmaIndex:6  */
/* localReadsVacancy: latencyLeft 5 */
_ds_load_b32 v[vgprValuA_X2_I0+2], v[vgprLocalReadAddrA] offset:3840 // L -> Reg lro=896 swapByteOffset=0 ti=32 vIdx=2 rIdx=0 oIdx=0 buffer=2 iui=0
_ds_load_b32 v[vgprValuB_X2_I0+1], v[vgprLocalReadAddrB] offset:160 // L -> Reg lro=8 swapByteOffset=0 ti=64 vIdx=0 rIdx=0 oIdx=0 buffer=2 iui=0
v_mfma_f32_16x16x4_f32 a[24+0:27+0], v[vgprValuA_X0_I0+0+0+0], v[vgprValuB_X0_I0+2+0+0], a[24:27]
/*  mfmaIndex:7  */
/* localReadsVacancy: latencyLeft 5 */
_ds_load_b32 v[vgprValuB_X2_I0+2], v[vgprLocalReadAddrB] offset:8480 // L -> Reg lro=8 swapByteOffset=0 ti=64 vIdx=1 rIdx=0 oIdx=0 buffer=2 iui=0
_ds_load_b32 v[vgprValuB_X2_I0+3], v[vgprLocalReadAddrB] offset:8608 // L -> Reg lro=8 swapByteOffset=0 ti=64 vIdx=1 rIdx=0 oIdx=0 buffer=2 iui=0
v_mfma_f32_16x16x4_f32 a[28+0:31+0], v[vgprValuA_X0_I0+1+0+0], v[vgprValuB_X0_I0+2+0+0], a[28:31]
/*  mfmaIndex:8  */
/* localReadsVacancy: latencyLeft 5 */
_ds_load_b32 v[vgprValuA_X3_I0+0], v[vgprLocalReadAddrA] offset:5376 // L -> Reg lro=1344 swapByteOffset=0 ti=32 vIdx=0 rIdx=0 oIdx=0 buffer=3 iui=0
_ds_load_b32 v[vgprValuB_X3_I0+0], v[vgprLocalReadAddrB] offset:48 // L -> Reg lro=12 swapByteOffset=0 ti=64 vIdx=0 rIdx=0 oIdx=0 buffer=3 iui=0
v_mfma_f32_16x16x4_f32 a[32+0:35+0], v[vgprValuA_X0_I0+2+0+0], v[vgprValuB_X0_I0+2+0+0], a[32:35]
/*  mfmaIndex:9  */
/* localReadsVacancy: latencyLeft 5 */
_ds_load_b32 v[vgprValuA_X3_I0+1], v[vgprLocalReadAddrA] offset:5504 // L -> Reg lro=1344 swapByteOffset=0 ti=32 vIdx=1 rIdx=0 oIdx=0 buffer=3 iui=0
_ds_load_b32 v[vgprValuA_X3_I0+2], v[vgprLocalReadAddrA] offset:5632 // L -> Reg lro=1344 swapByteOffset=0 ti=32 vIdx=2 rIdx=0 oIdx=0 buffer=3 iui=0
v_mfma_f32_16x16x4_f32 a[44+0:47+0], v[vgprValuA_X0_I0+2+0+0], v[vgprValuB_X0_I0+3+0+0], a[44:47]
/*  mfmaIndex:10  */
/* localReadsVacancy: latencyLeft 5 */
_ds_load_b32 v[vgprValuB_X3_I0+1], v[vgprLocalReadAddrB] offset:176 // L -> Reg lro=12 swapByteOffset=0 ti=64 vIdx=0 rIdx=0 oIdx=0 buffer=3 iui=0
_ds_load_b32 v[vgprValuB_X3_I0+2], v[vgprLocalReadAddrB] offset:8496 // L -> Reg lro=12 swapByteOffset=0 ti=64 vIdx=1 rIdx=0 oIdx=0 buffer=3 iui=0
v_mfma_f32_16x16x4_f32 a[40+0:43+0], v[vgprValuA_X0_I0+1+0+0], v[vgprValuB_X0_I0+3+0+0], a[40:43]
/*  mfmaIndex:11  */
/* localReadsVacancy: latencyLeft 5 */
_ds_load_b32 v[vgprValuB_X3_I0+3], v[vgprLocalReadAddrB] offset:8624 // L -> Reg lro=12 swapByteOffset=0 ti=64 vIdx=1 rIdx=0 oIdx=0 buffer=3 iui=0
_ds_load_b32 v[vgprValuA_X4_I0+0], v[vgprLocalReadAddrA] offset:7168 // L -> Reg lro=1792 swapByteOffset=0 ti=32 vIdx=0 rIdx=0 oIdx=0 buffer=4 iui=0
v_mfma_f32_16x16x4_f32 a[36+0:39+0], v[vgprValuA_X0_I0+0+0+0], v[vgprValuB_X0_I0+3+0+0], a[36:39]
/* numPrefetchIter=0 */
/* dataAtIterA=-1 numReadsIterA=1 skipReadsIterA=1 readsPerIterA=3 */
/* dataAtIterB=-1 numReadsIterB=1 skipReadsIterB=1 readsPerIterB=4 */


/* iter 1 (last unrolled loop) */

/*  grEndMfmaIndex:0, lwStartMfmaIndex:88, lwEndMfmaIndex:88  */
/*  numMfmaForLR:4, barrierMfmaIndex:91 */
/*  mfmaIndex:12  */
/* localReadsVacancy: latencyLeft 5 */
_ds_load_b32 v[vgprValuB_X4_I0+0], v[vgprLocalReadAddrB] offset:64 // L -> Reg lro=16 swapByteOffset=0 ti=64 vIdx=0 rIdx=0 oIdx=0 buffer=4 iui=0
_ds_load_b32 v[vgprValuA_X4_I0+1], v[vgprLocalReadAddrA] offset:7296 // L -> Reg lro=1792 swapByteOffset=0 ti=32 vIdx=1 rIdx=0 oIdx=0 buffer=4 iui=0
s_waitcnt lgkmcnt(15)                              // lgkmcnt=0 vmcnt=-1wait for prior local read local write old=7, new=7 newLW=0 newLR=0
v_mfma_f32_16x16x4_f32 a[0+0:3+0], v[vgprValuA_X1_I0+0+0+0], v[vgprValuB_X1_I0+0+0+0], a[0:3]
/*  mfmaIndex:13  */
/* localReadsVacancy: latencyLeft 5 */
_ds_load_b32 v[vgprValuA_X4_I0+2], v[vgprLocalReadAddrA] offset:7424 // L -> Reg lro=1792 swapByteOffset=0 ti=32 vIdx=2 rIdx=0 oIdx=0 buffer=4 iui=0
_ds_load_b32 v[vgprValuB_X4_I0+1], v[vgprLocalReadAddrB] offset:192 // L -> Reg lro=16 swapByteOffset=0 ti=64 vIdx=0 rIdx=0 oIdx=0 buffer=4 iui=0
v_mfma_f32_16x16x4_f32 a[4+0:7+0], v[vgprValuA_X1_I0+1+0+0], v[vgprValuB_X1_I0+0+0+0], a[4:7]
/*  mfmaIndex:14  */
/* localReadsVacancy: latencyLeft 5 */
_ds_load_b32 v[vgprValuB_X4_I0+2], v[vgprLocalReadAddrB] offset:8512 // L -> Reg lro=16 swapByteOffset=0 ti=64 vIdx=1 rIdx=0 oIdx=0 buffer=4 iui=0
_ds_load_b32 v[vgprValuB_X4_I0+3], v[vgprLocalReadAddrB] offset:8640 // L -> Reg lro=16 swapByteOffset=0 ti=64 vIdx=1 rIdx=0 oIdx=0 buffer=4 iui=0
v_mfma_f32_16x16x4_f32 a[8+0:11+0], v[vgprValuA_X1_I0+2+0+0], v[vgprValuB_X1_I0+0+0+0], a[8:11]
/*  mfmaIndex:15  */
/* localReadsVacancy: latencyLeft 5 */
_ds_load_b32 v[vgprValuA_X5_I0+0], v[vgprLocalReadAddrA] offset:8960 // L -> Reg lro=2240 swapByteOffset=0 ti=32 vIdx=0 rIdx=0 oIdx=0 buffer=5 iui=0
_ds_load_b32 v[vgprValuB_X5_I0+0], v[vgprLocalReadAddrB] offset:80 // L -> Reg lro=20 swapByteOffset=0 ti=64 vIdx=0 rIdx=0 oIdx=0 buffer=5 iui=0
v_mfma_f32_16x16x4_f32 a[20+0:23+0], v[vgprValuA_X1_I0+2+0+0], v[vgprValuB_X1_I0+1+0+0], a[20:23]
/*  mfmaIndex:16  */
/* localReadsVacancy: latencyLeft 5 */
_ds_load_b32 v[vgprValuA_X5_I0+1], v[vgprLocalReadAddrA] offset:9088 // L -> Reg lro=2240 swapByteOffset=0 ti=32 vIdx=1 rIdx=0 oIdx=0 buffer=5 iui=0
_ds_load_b32 v[vgprValuA_X5_I0+2], v[vgprLocalReadAddrA] offset:9216 // L -> Reg lro=2240 swapByteOffset=0 ti=32 vIdx=2 rIdx=0 oIdx=0 buffer=5 iui=0
v_mfma_f32_16x16x4_f32 a[16+0:19+0], v[vgprValuA_X1_I0+1+0+0], v[vgprValuB_X1_I0+1+0+0], a[16:19]
/*  mfmaIndex:17  */
/* localReadsVacancy: latencyLeft 5 */
_ds_load_b32 v[vgprValuB_X5_I0+1], v[vgprLocalReadAddrB] offset:208 // L -> Reg lro=20 swapByteOffset=0 ti=64 vIdx=0 rIdx=0 oIdx=0 buffer=5 iui=0
_ds_load_b32 v[vgprValuB_X5_I0+2], v[vgprLocalReadAddrB] offset:8528 // L -> Reg lro=20 swapByteOffset=0 ti=64 vIdx=1 rIdx=0 oIdx=0 buffer=5 iui=0
v_mfma_f32_16x16x4_f32 a[12+0:15+0], v[vgprValuA_X1_I0+0+0+0], v[vgprValuB_X1_I0+1+0+0], a[12:15]
/*  mfmaIndex:18  */
/* localReadsVacancy: latencyLeft 5 */
_ds_load_b32 v[vgprValuB_X5_I0+3], v[vgprLocalReadAddrB] offset:8656 // L -> Reg lro=20 swapByteOffset=0 ti=64 vIdx=1 rIdx=0 oIdx=0 buffer=5 iui=0
_ds_load_b32 v[vgprValuA_X6_I0+0], v[vgprLocalReadAddrA] offset:10752 // L -> Reg lro=2688 swapByteOffset=0 ti=32 vIdx=0 rIdx=0 oIdx=0 buffer=6 iui=0
v_mfma_f32_16x16x4_f32 a[24+0:27+0], v[vgprValuA_X1_I0+0+0+0], v[vgprValuB_X1_I0+2+0+0], a[24:27]
/*  mfmaIndex:19  */
/* localReadsVacancy: latencyLeft 5 */
_ds_load_b32 v[vgprValuB_X6_I0+0], v[vgprLocalReadAddrB] offset:96 // L -> Reg lro=24 swapByteOffset=0 ti=64 vIdx=0 rIdx=0 oIdx=0 buffer=6 iui=0
_ds_load_b32 v[vgprValuA_X6_I0+1], v[vgprLocalReadAddrA] offset:10880 // L -> Reg lro=2688 swapByteOffset=0 ti=32 vIdx=1 rIdx=0 oIdx=0 buffer=6 iui=0
v_mfma_f32_16x16x4_f32 a[28+0:31+0], v[vgprValuA_X1_I0+1+0+0], v[vgprValuB_X1_I0+2+0+0], a[28:31]
/*  mfmaIndex:20  */
/* localReadsVacancy: latencyLeft 5 */
_ds_load_b32 v[vgprValuA_X6_I0+2], v[vgprLocalReadAddrA] offset:11008 // L -> Reg lro=2688 swapByteOffset=0 ti=32 vIdx=2 rIdx=0 oIdx=0 buffer=6 iui=0
_ds_load_b32 v[vgprValuB_X6_I0+1], v[vgprLocalReadAddrB] offset:224 // L -> Reg lro=24 swapByteOffset=0 ti=64 vIdx=0 rIdx=0 oIdx=0 buffer=6 iui=0
v_mfma_f32_16x16x4_f32 a[32+0:35+0], v[vgprValuA_X1_I0+2+0+0], v[vgprValuB_X1_I0+2+0+0], a[32:35]
/*  mfmaIndex:21  */
/* localReadsVacancy: latencyLeft 5 */
_ds_load_b32 v[vgprValuB_X6_I0+2], v[vgprLocalReadAddrB] offset:8544 // L -> Reg lro=24 swapByteOffset=0 ti=64 vIdx=1 rIdx=0 oIdx=0 buffer=6 iui=0
_ds_load_b32 v[vgprValuB_X6_I0+3], v[vgprLocalReadAddrB] offset:8672 // L -> Reg lro=24 swapByteOffset=0 ti=64 vIdx=1 rIdx=0 oIdx=0 buffer=6 iui=0
v_mfma_f32_16x16x4_f32 a[44+0:47+0], v[vgprValuA_X1_I0+2+0+0], v[vgprValuB_X1_I0+3+0+0], a[44:47]
/*  mfmaIndex:22  */
/* localReadsVacancy: latencyLeft 5 */
_ds_load_b32 v[vgprValuA_X7_I0+0], v[vgprLocalReadAddrA] offset:12544 // L -> Reg lro=3136 swapByteOffset=0 ti=32 vIdx=0 rIdx=0 oIdx=0 buffer=7 iui=0
_ds_load_b32 v[vgprValuB_X7_I0+0], v[vgprLocalReadAddrB] offset:112 // L -> Reg lro=28 swapByteOffset=0 ti=64 vIdx=0 rIdx=0 oIdx=0 buffer=7 iui=0
v_mfma_f32_16x16x4_f32 a[40+0:43+0], v[vgprValuA_X1_I0+1+0+0], v[vgprValuB_X1_I0+3+0+0], a[40:43]
/*  mfmaIndex:23  */
/* localReadsVacancy: latencyLeft 5 */
_ds_load_b32 v[vgprValuA_X7_I0+1], v[vgprLocalReadAddrA] offset:12672 // L -> Reg lro=3136 swapByteOffset=0 ti=32 vIdx=1 rIdx=0 oIdx=0 buffer=7 iui=0
_ds_load_b32 v[vgprValuA_X7_I0+2], v[vgprLocalReadAddrA] offset:12800 // L -> Reg lro=3136 swapByteOffset=0 ti=32 vIdx=2 rIdx=0 oIdx=0 buffer=7 iui=0
v_mfma_f32_16x16x4_f32 a[36+0:39+0], v[vgprValuA_X1_I0+0+0+0], v[vgprValuB_X1_I0+3+0+0], a[36:39]
/* numPrefetchIter=0 */
/* dataAtIterA=0 numReadsIterA=2 skipReadsIterA=1 readsPerIterA=3 */
/* dataAtIterB=0 numReadsIterB=2 skipReadsIterB=1 readsPerIterB=4 */


/* iter 2 (last unrolled loop) */

/*  grEndMfmaIndex:0, lwStartMfmaIndex:88, lwEndMfmaIndex:88  */
/*  numMfmaForLR:4, barrierMfmaIndex:91 */
/*  mfmaIndex:24  */
/* localReadsVacancy: latencyLeft 5 */
_ds_load_b32 v[vgprValuB_X7_I0+1], v[vgprLocalReadAddrB] offset:240 // L -> Reg lro=28 swapByteOffset=0 ti=64 vIdx=0 rIdx=0 oIdx=0 buffer=7 iui=0
_ds_load_b32 v[vgprValuB_X7_I0+2], v[vgprLocalReadAddrB] offset:8560 // L -> Reg lro=28 swapByteOffset=0 ti=64 vIdx=1 rIdx=0 oIdx=0 buffer=7 iui=0
s_waitcnt lgkmcnt(15)                              // lgkmcnt=0 vmcnt=-1wait for prior local read local write old=0, new=0 newLW=0 newLR=0
v_mfma_f32_16x16x4_f32 a[0+0:3+0], v[vgprValuA_X2_I0+0+0+0], v[vgprValuB_X2_I0+0+0+0], a[0:3]
/*  mfmaIndex:25  */
/* localReadsVacancy: latencyLeft 5 */
_ds_load_b32 v[vgprValuB_X7_I0+3], v[vgprLocalReadAddrB] offset:8688 // L -> Reg lro=28 swapByteOffset=0 ti=64 vIdx=1 rIdx=0 oIdx=0 buffer=7 iui=0
v_mfma_f32_16x16x4_f32 a[4+0:7+0], v[vgprValuA_X2_I0+1+0+0], v[vgprValuB_X2_I0+0+0+0], a[4:7]
/*  mfmaIndex:26  */
/* localReadsVacancy: latencyLeft 5 */
v_mfma_f32_16x16x4_f32 a[8+0:11+0], v[vgprValuA_X2_I0+2+0+0], v[vgprValuB_X2_I0+0+0+0], a[8:11]
/*  mfmaIndex:27  */
/* localReadsVacancy: latencyLeft 5 */
	;; [unrolled: 3-line block ×10, first 2 shown]
v_mfma_f32_16x16x4_f32 a[36+0:39+0], v[vgprValuA_X2_I0+0+0+0], v[vgprValuB_X2_I0+3+0+0], a[36:39]
/* numPrefetchIter=0 */
/* dataAtIterA=1 numReadsIterA=3 skipReadsIterA=1 readsPerIterA=3 */
/* dataAtIterB=1 numReadsIterB=3 skipReadsIterB=1 readsPerIterB=4 */


/* iter 3 (last unrolled loop) */

/*  grEndMfmaIndex:0, lwStartMfmaIndex:88, lwEndMfmaIndex:88  */
/*  numMfmaForLR:4, barrierMfmaIndex:91 */
/*  mfmaIndex:36  */
/* localReadsVacancy: latencyLeft 5 */
s_waitcnt lgkmcnt(15)                              // lgkmcnt=0 vmcnt=-1wait for prior local read local write old=6, new=6 newLW=0 newLR=0
v_mfma_f32_16x16x4_f32 a[0+0:3+0], v[vgprValuA_X3_I0+0+0+0], v[vgprValuB_X3_I0+0+0+0], a[0:3]
/*  mfmaIndex:37  */
/* localReadsVacancy: latencyLeft 5 */
v_mfma_f32_16x16x4_f32 a[4+0:7+0], v[vgprValuA_X3_I0+1+0+0], v[vgprValuB_X3_I0+0+0+0], a[4:7]
/*  mfmaIndex:38  */
/* localReadsVacancy: latencyLeft 5 */
	;; [unrolled: 3-line block ×11, first 2 shown]
v_mfma_f32_16x16x4_f32 a[36+0:39+0], v[vgprValuA_X3_I0+0+0+0], v[vgprValuB_X3_I0+3+0+0], a[36:39]
/* numPrefetchIter=0 */
/* dataAtIterA=2 numReadsIterA=4 skipReadsIterA=1 readsPerIterA=3 */
/* dataAtIterB=2 numReadsIterB=4 skipReadsIterB=1 readsPerIterB=4 */


/* iter 4 (last unrolled loop) */

/*  grEndMfmaIndex:0, lwStartMfmaIndex:88, lwEndMfmaIndex:88  */
/*  numMfmaForLR:4, barrierMfmaIndex:91 */
/*  mfmaIndex:48  */
/* localReadsVacancy: latencyLeft 5 */
s_waitcnt lgkmcnt(15)                              // lgkmcnt=0 vmcnt=-1wait for prior local read local write old=7, new=7 newLW=0 newLR=0
v_mfma_f32_16x16x4_f32 a[0+0:3+0], v[vgprValuA_X4_I0+0+0+0], v[vgprValuB_X4_I0+0+0+0], a[0:3]
/*  mfmaIndex:49  */
/* localReadsVacancy: latencyLeft 5 */
v_mfma_f32_16x16x4_f32 a[4+0:7+0], v[vgprValuA_X4_I0+1+0+0], v[vgprValuB_X4_I0+0+0+0], a[4:7]
/*  mfmaIndex:50  */
/* localReadsVacancy: latencyLeft 5 */
	;; [unrolled: 3-line block ×11, first 2 shown]
v_mfma_f32_16x16x4_f32 a[36+0:39+0], v[vgprValuA_X4_I0+0+0+0], v[vgprValuB_X4_I0+3+0+0], a[36:39]
/* numPrefetchIter=0 */
/* dataAtIterA=3 numReadsIterA=5 skipReadsIterA=1 readsPerIterA=3 */
/* dataAtIterB=3 numReadsIterB=5 skipReadsIterB=1 readsPerIterB=4 */


/* iter 5 (last unrolled loop) */

/*  grEndMfmaIndex:0, lwStartMfmaIndex:88, lwEndMfmaIndex:88  */
/*  numMfmaForLR:4, barrierMfmaIndex:91 */
/*  mfmaIndex:60  */
/* localReadsVacancy: latencyLeft 5 */
s_waitcnt lgkmcnt(14)                              // lgkmcnt=0 vmcnt=-1wait for prior local read local write old=7, new=7 newLW=0 newLR=0
v_mfma_f32_16x16x4_f32 a[0+0:3+0], v[vgprValuA_X5_I0+0+0+0], v[vgprValuB_X5_I0+0+0+0], a[0:3]
/*  mfmaIndex:61  */
/* localReadsVacancy: latencyLeft 5 */
v_mfma_f32_16x16x4_f32 a[4+0:7+0], v[vgprValuA_X5_I0+1+0+0], v[vgprValuB_X5_I0+0+0+0], a[4:7]
/*  mfmaIndex:62  */
/* localReadsVacancy: latencyLeft 5 */
	;; [unrolled: 3-line block ×11, first 2 shown]
v_mfma_f32_16x16x4_f32 a[36+0:39+0], v[vgprValuA_X5_I0+0+0+0], v[vgprValuB_X5_I0+3+0+0], a[36:39]
/* numPrefetchIter=0 */
/* dataAtIterA=4 numReadsIterA=6 skipReadsIterA=1 readsPerIterA=3 */
/* dataAtIterB=4 numReadsIterB=6 skipReadsIterB=1 readsPerIterB=4 */


/* iter 6 (last unrolled loop) */

/*  grEndMfmaIndex:0, lwStartMfmaIndex:88, lwEndMfmaIndex:88  */
/*  numMfmaForLR:4, barrierMfmaIndex:91 */
/*  mfmaIndex:72  */
/* localReadsVacancy: latencyLeft 5 */
s_waitcnt lgkmcnt(7)                               // lgkmcnt=0 vmcnt=-1wait for prior local read local write old=7, new=7 newLW=0 newLR=0
v_mfma_f32_16x16x4_f32 a[0+0:3+0], v[vgprValuA_X6_I0+0+0+0], v[vgprValuB_X6_I0+0+0+0], a[0:3]
/*  mfmaIndex:73  */
/* localReadsVacancy: latencyLeft 5 */
v_mfma_f32_16x16x4_f32 a[4+0:7+0], v[vgprValuA_X6_I0+1+0+0], v[vgprValuB_X6_I0+0+0+0], a[4:7]
/*  mfmaIndex:74  */
/* localReadsVacancy: latencyLeft 5 */
	;; [unrolled: 3-line block ×11, first 2 shown]
v_mfma_f32_16x16x4_f32 a[36+0:39+0], v[vgprValuA_X6_I0+0+0+0], v[vgprValuB_X6_I0+3+0+0], a[36:39]
/* numPrefetchIter=0 */
/* dataAtIterA=5 numReadsIterA=7 skipReadsIterA=1 readsPerIterA=3 */
/* dataAtIterB=5 numReadsIterB=7 skipReadsIterB=1 readsPerIterB=4 */


/* iter 7 (last unrolled loop) */

/*  grEndMfmaIndex:0, lwStartMfmaIndex:88, lwEndMfmaIndex:88  */
/*  numMfmaForLR:4, barrierMfmaIndex:91 */
/*  mfmaIndex:84  */
s_waitcnt lgkmcnt(0)                               // lgkmcnt=0 vmcnt=-1wait for prior local read local write old=0, new=0 newLW=0 newLR=0
v_mfma_f32_16x16x4_f32 a[0+0:3+0], v[vgprValuA_X7_I0+0+0+0], v[vgprValuB_X7_I0+0+0+0], a[0:3]
/*  mfmaIndex:85  */
v_mfma_f32_16x16x4_f32 a[4+0:7+0], v[vgprValuA_X7_I0+1+0+0], v[vgprValuB_X7_I0+0+0+0], a[4:7]
/*  mfmaIndex:86  */
	;; [unrolled: 2-line block ×3, first 2 shown]
/* 1 LDS buffer: read-sync-write */
s_waitcnt lgkmcnt(0)                               // 
s_barrier                                          // 
v_mfma_f32_16x16x4_f32 a[20+0:23+0], v[vgprValuA_X7_I0+2+0+0], v[vgprValuB_X7_I0+1+0+0], a[20:23]
/*  mfmaIndex:88  */
v_mfma_f32_16x16x4_f32 a[16+0:19+0], v[vgprValuA_X7_I0+1+0+0], v[vgprValuB_X7_I0+1+0+0], a[16:19]
/*  mfmaIndex:89  */
	;; [unrolled: 2-line block ×8, first 2 shown]
v_mfma_f32_16x16x4_f32 a[36+0:39+0], v[vgprValuA_X7_I0+0+0+0], v[vgprValuB_X7_I0+3+0+0], a[36:39]
/* numPrefetchIter=0 */
/* dataAtIterA=6 numReadsIterA=7 skipReadsIterA=0 readsPerIterA=3 */
/* dataAtIterB=6 numReadsIterB=7 skipReadsIterB=0 readsPerIterB=4 */

PrefetchGlobalLastIterEnd_5:


/******************************************/
/* Tail Loop                              */
/******************************************/


/* local write reset offsets a */


	;; [unrolled: 1-line block ×4, first 2 shown]
/* local write reset offsets b */


	;; [unrolled: 1-line block ×4, first 2 shown]
//numIterL = (((sizeL % LOCAL_DEPTHU) + LOCAL_SPLITU - 1) / LOCAL_SPLITU)
s_and_b32 s[sgprLoopCounterL], 31, s[sgprSizesSum+0] // s[sgprLoopCounterL] = s[sgprSizesSum+0] % 32
s_cmp_eq_u32 s[sgprLoopCounterL], 0x0              // numIterL == 0
s_cbranch_scc1 SkipTailLoopL_8                     // skip to end of tail loop b/c numIter==0
s_mov_b32 s[sgprOrigLoopCounter], 0                // repurpose to count each localRead increment


/* remove stagger offsets for tail loop */

s_mov_b32 s86, 3                                   // 
s_mul_hi_u32 s85, s86, s[sgprGlobalReadIncsA+0]    // 3 * GlobalReadIncs
s_mul_i32 s84, s86, s[sgprGlobalReadIncsA+0]       // 3 * GlobalReadIncs
s_mul_hi_u32 s87, s[sgprStaggerUIter], s[sgprGlobalReadIncsA+0] // StaggerUIter * GlobalReadIncs
s_mul_i32 s86, s[sgprStaggerUIter], s[sgprGlobalReadIncsA+0] // StaggerUIter * GlobalReadIncs
s_sub_u32 s84, s84, s86                            // start offset S in bytes
s_subb_u32 s85, s85, s87                           // start offset S in bytes
s_sub_u32 s84, s84, s[sgprWrapUA]                  // S - WrapU
s_subb_u32 s85, s85, s[sgprWrapUA+1]               // S - WrapU
s_add_u32 s[sgprSrdA+0], s[sgprSrdA+0], s84        // gra SRD += inc(lower)
s_addc_u32  s[sgprSrdA+1], s[sgprSrdA+1], s85      // gra SRD += inc(upper)
s_sub_u32 s[sgprShadowLimitA+0], s[sgprShadowLimitA+0], s84 // limit -= inc)
s_subb_u32 s[sgprShadowLimitA+1], s[sgprShadowLimitA+1], s85 // limit -= inc)
s_cmp_eq_u32 s[sgprShadowLimitA+1], 0              // are we within 2^32?
s_cselect_b32 s[sgprSrdA+2], s[sgprShadowLimitA+0], BufferLimitA // Move shadow to real if we are within 2^32

s_mov_b32 s86, 3                                   // 
s_mul_hi_u32 s85, s86, s[sgprGlobalReadIncsB+0]    // 3 * GlobalReadIncs
s_mul_i32 s84, s86, s[sgprGlobalReadIncsB+0]       // 3 * GlobalReadIncs
s_mul_hi_u32 s87, s[sgprStaggerUIter], s[sgprGlobalReadIncsB+0] // StaggerUIter * GlobalReadIncs
s_mul_i32 s86, s[sgprStaggerUIter], s[sgprGlobalReadIncsB+0] // StaggerUIter * GlobalReadIncs
s_sub_u32 s84, s84, s86                            // start offset S in bytes
s_subb_u32 s85, s85, s87                           // start offset S in bytes
s_sub_u32 s84, s84, s[sgprWrapUB]                  // S - WrapU
s_subb_u32 s85, s85, s[sgprWrapUB+1]               // S - WrapU
s_add_u32 s[sgprSrdB+0], s[sgprSrdB+0], s84        // gra SRD += inc(lower)
s_addc_u32  s[sgprSrdB+1], s[sgprSrdB+1], s85      // gra SRD += inc(upper)
s_sub_u32 s[sgprShadowLimitB+0], s[sgprShadowLimitB+0], s84 // limit -= inc)
s_subb_u32 s[sgprShadowLimitB+1], s[sgprShadowLimitB+1], s85 // limit -= inc)
s_cmp_eq_u32 s[sgprShadowLimitB+1], 0              // are we within 2^32?
s_cselect_b32 s[sgprSrdB+2], s[sgprShadowLimitB+0], BufferLimitB // Move shadow to real if we are within 2^32


/* Update M0 for DTLDS */


	;; [unrolled: 1-line block ×3, first 2 shown]
/* global read a */

/* g2l=0, load component 0 */
_buffer_load_b32 v[vgprG2LA+0+0], v[vgprGlobalReadOffsetA+0], s[sgprSrdA:sgprSrdA+3], 0, offen offset:0 // load one buffer value
/* g2l=1, load component 0 */
_buffer_load_b32 v[vgprG2LA+1+0], v[vgprGlobalReadOffsetA+0], s[sgprSrdA:sgprSrdA+3], s[sgprScalarGlobalReadOffsetA+0], offen offset:0 // load one buffer value
/* g2l=2, load component 0 */
_buffer_load_b32 v[vgprG2LA+2+0], v[vgprGlobalReadOffsetA+0], s[sgprSrdA:sgprSrdA+3], s[sgprScalarGlobalReadOffsetA+1], offen offset:0 // load one buffer value
	;; [unrolled: 2-line block ×11, first 2 shown]


/* Update M0 for DTLDS */


	;; [unrolled: 1-line block ×3, first 2 shown]
/* global read b */

/* g2l=0, load component 0 */
_buffer_load_b32 v[vgprG2LB+0+0], v[vgprGlobalReadOffsetB+0], s[sgprSrdB:sgprSrdB+3], 0, offen offset:0 // load one buffer value
/* g2l=1, load component 0 */
_buffer_load_b32 v[vgprG2LB+1+0], v[vgprGlobalReadOffsetB+0], s[sgprSrdB:sgprSrdB+3], s[sgprScalarGlobalReadOffsetB+0], offen offset:0 // load one buffer value
/* g2l=2, load component 0 */
_buffer_load_b32 v[vgprG2LB+2+0], v[vgprGlobalReadOffsetB+0], s[sgprSrdB:sgprSrdB+3], s[sgprScalarGlobalReadOffsetB+1], offen offset:0 // load one buffer value
	;; [unrolled: 2-line block ×15, first 2 shown]

s_waitcnt vmcnt(0)                                 // lgkmcnt=-1 vmcnt=02wait for global read

s_waitcnt lgkmcnt(0) & vmcnt(0)                    // force waitcnt0
s_barrier //


/* Done global A/B reads */


	;; [unrolled: 1-line block ×4, first 2 shown]
/* local write a */

_ds_store_b32 v[vgprLocalWriteAddrA], v[vgprG2LA+0] offset:0 // lwoA_0_0_0_0 = (0*LSCA) + (0*LSPA)(*MT0I+PAD) = 0
_ds_store_b32 v[vgprLocalWriteAddrA], v[vgprG2LA+1] offset:128 // lwoA_1_0_0_0 = (1*LSCA) + (0*LSPA)(*MT0I+PAD) = 128
_ds_store_b32 v[vgprLocalWriteAddrA], v[vgprG2LA+2] offset:256 // lwoA_2_0_0_0 = (2*LSCA) + (0*LSPA)(*MT0I+PAD) = 256
_ds_store_b32 v[vgprLocalWriteAddrA], v[vgprG2LA+3] offset:3584 // lwoA_0_0_1_0 = (0*LSCA) + (1*LSPA)(*MT0I+PAD) = 3584
_ds_store_b32 v[vgprLocalWriteAddrA], v[vgprG2LA+4] offset:3712 // lwoA_1_0_1_0 = (1*LSCA) + (1*LSPA)(*MT0I+PAD) = 3712
_ds_store_b32 v[vgprLocalWriteAddrA], v[vgprG2LA+5] offset:3840 // lwoA_2_0_1_0 = (2*LSCA) + (1*LSPA)(*MT0I+PAD) = 3840
_ds_store_b32 v[vgprLocalWriteAddrA], v[vgprG2LA+6] offset:7168 // lwoA_0_0_2_0 = (0*LSCA) + (2*LSPA)(*MT0I+PAD) = 7168
_ds_store_b32 v[vgprLocalWriteAddrA], v[vgprG2LA+7] offset:7296 // lwoA_1_0_2_0 = (1*LSCA) + (2*LSPA)(*MT0I+PAD) = 7296
_ds_store_b32 v[vgprLocalWriteAddrA], v[vgprG2LA+8] offset:7424 // lwoA_2_0_2_0 = (2*LSCA) + (2*LSPA)(*MT0I+PAD) = 7424
_ds_store_b32 v[vgprLocalWriteAddrA], v[vgprG2LA+9] offset:10752 // lwoA_0_0_3_0 = (0*LSCA) + (3*LSPA)(*MT0I+PAD) = 10752
_ds_store_b32 v[vgprLocalWriteAddrA], v[vgprG2LA+10] offset:10880 // lwoA_1_0_3_0 = (1*LSCA) + (3*LSPA)(*MT0I+PAD) = 10880
_ds_store_b32 v[vgprLocalWriteAddrA], v[vgprG2LA+11] offset:11008 // lwoA_2_0_3_0 = (2*LSCA) + (3*LSPA)(*MT0I+PAD) = 11008


/* local write b */

_ds_store_b32 v[vgprLocalWriteAddrB], v[vgprG2LB+0] offset:0 // lwoB_0_0_0_0 = (0*LSCB)*(MT1J+PAD) + (0*LSPB) = 0
_ds_store_b32 v[vgprLocalWriteAddrB], v[vgprG2LB+1] offset:1056 // lwoB_0_0_1_0 = (0*LSCB)*(MT1J+PAD) + (1*LSPB) = 1056
_ds_store_b32 v[vgprLocalWriteAddrB], v[vgprG2LB+2] offset:2112 // lwoB_0_0_2_0 = (0*LSCB)*(MT1J+PAD) + (2*LSPB) = 2112
_ds_store_b32 v[vgprLocalWriteAddrB], v[vgprG2LB+3] offset:3168 // lwoB_0_0_3_0 = (0*LSCB)*(MT1J+PAD) + (3*LSPB) = 3168
_ds_store_b32 v[vgprLocalWriteAddrB], v[vgprG2LB+4] offset:4224 // lwoB_0_0_4_0 = (0*LSCB)*(MT1J+PAD) + (4*LSPB) = 4224
_ds_store_b32 v[vgprLocalWriteAddrB], v[vgprG2LB+5] offset:5280 // lwoB_0_0_5_0 = (0*LSCB)*(MT1J+PAD) + (5*LSPB) = 5280
_ds_store_b32 v[vgprLocalWriteAddrB], v[vgprG2LB+6] offset:6336 // lwoB_0_0_6_0 = (0*LSCB)*(MT1J+PAD) + (6*LSPB) = 6336
_ds_store_b32 v[vgprLocalWriteAddrB], v[vgprG2LB+7] offset:7392 // lwoB_0_0_7_0 = (0*LSCB)*(MT1J+PAD) + (7*LSPB) = 7392
_ds_store_b32 v[vgprLocalWriteAddrB], v[vgprG2LB+8] offset:8448 // lwoB_0_0_8_0 = (0*LSCB)*(MT1J+PAD) + (8*LSPB) = 8448
_ds_store_b32 v[vgprLocalWriteAddrB], v[vgprG2LB+9] offset:9504 // lwoB_0_0_9_0 = (0*LSCB)*(MT1J+PAD) + (9*LSPB) = 9504
_ds_store_b32 v[vgprLocalWriteAddrB], v[vgprG2LB+10] offset:10560 // lwoB_0_0_10_0 = (0*LSCB)*(MT1J+PAD) + (10*LSPB) = 10560
_ds_store_b32 v[vgprLocalWriteAddrB], v[vgprG2LB+11] offset:11616 // lwoB_0_0_11_0 = (0*LSCB)*(MT1J+PAD) + (11*LSPB) = 11616
_ds_store_b32 v[vgprLocalWriteAddrB], v[vgprG2LB+12] offset:12672 // lwoB_0_0_12_0 = (0*LSCB)*(MT1J+PAD) + (12*LSPB) = 12672
_ds_store_b32 v[vgprLocalWriteAddrB], v[vgprG2LB+13] offset:13728 // lwoB_0_0_13_0 = (0*LSCB)*(MT1J+PAD) + (13*LSPB) = 13728
_ds_store_b32 v[vgprLocalWriteAddrB], v[vgprG2LB+14] offset:14784 // lwoB_0_0_14_0 = (0*LSCB)*(MT1J+PAD) + (14*LSPB) = 14784
_ds_store_b32 v[vgprLocalWriteAddrB], v[vgprG2LB+15] offset:15840 // lwoB_0_0_15_0 = (0*LSCB)*(MT1J+PAD) + (15*LSPB) = 15840


/* Recalc local read offsets */


s_waitcnt lgkmcnt(0)                               // lgkmcnt=0 vmcnt=-15wait for local write

s_waitcnt lgkmcnt(0) & vmcnt(0)                    // force waitcnt0
s_barrier //


/* local read reset offsets a */


	;; [unrolled: 1-line block ×3, first 2 shown]
/* local read reset offsets b */


	;; [unrolled: 1-line block ×3, first 2 shown]
/* local read init pointers a */


/* localReadInitPointers */


/* local read init pointers b */


/* localReadInitPointers */


/* tail loop: macs */

TailLoopBeginL_6:


/* tail loop unroll iter 0 */


/* local read a */

_ds_load_b32 v[vgprValuA_X0_I0+0], v[vgprLocalReadAddrA] offset:0 // L -> Reg lro=0 swapByteOffset=0 ti=32 vIdx=0 rIdx=0 oIdx=0 buffer=0 iui=0
_ds_load_b32 v[vgprValuA_X0_I0+1], v[vgprLocalReadAddrA] offset:128 // L -> Reg lro=0 swapByteOffset=0 ti=32 vIdx=1 rIdx=0 oIdx=0 buffer=0 iui=0
	;; [unrolled: 1-line block ×3, first 2 shown]


/* local read b */

_ds_load_b32 v[vgprValuB_X0_I0+0], v[vgprLocalReadAddrB] offset:0 // L -> Reg lro=0 swapByteOffset=0 ti=64 vIdx=0 rIdx=0 oIdx=0 buffer=0 iui=0
_ds_load_b32 v[vgprValuB_X0_I0+1], v[vgprLocalReadAddrB] offset:128 // L -> Reg lro=0 swapByteOffset=0 ti=64 vIdx=0 rIdx=0 oIdx=0 buffer=0 iui=0
	;; [unrolled: 1-line block ×4, first 2 shown]


/* local read inc a */

s_mov_b32 s56, 0x700                               // inc
_v_add_co_u32 v[vgprLocalReadAddrA], vcc, s56, v[vgprLocalReadAddrA] // lrA += 1792 (LSU*(MT+PAD)*bpe)


/* local read inc b */

s_mov_b32 s56, 0x10                                // inc
_v_add_co_u32 v[vgprLocalReadAddrB], vcc, s56, v[vgprLocalReadAddrB] // lrB += 16 (LSU*bpe)

s_waitcnt lgkmcnt(0)                               // lgkmcnt=0 vmcnt=-14wait for local read


	;; [unrolled: 1-line block ×3, first 2 shown]
/* tail loop mfma iter 0: numReadsIterCoalescedA=1, numReadsIterCoalescedB=1 */
v_and_b32 v91, 63, v[vgprSerial]                   // v91 = v[vgprSerial] % 64
v_lshrrev_b32 v91, 4, v91                          // v91 = v91 / 16
                                                   // v91 = v91 * 1 (multiplier is 1, do nothing)
v_cmp_ge_i32 s[84:85], v91, s[sgprLoopCounterL]    // check K index >= Size L
v_cndmask_b32 v[vgprValuB_X0_I0+0+0+0+0], v[vgprValuB_X0_I0+0+0+0+0], 0x0, s[84:85] // set 0 if K_idx >= sizeL
v_cndmask_b32 v[vgprValuB_X0_I0+1+0+0+0], v[vgprValuB_X0_I0+1+0+0+0], 0x0, s[84:85] // set 0 if K_idx >= sizeL
	;; [unrolled: 1-line block ×4, first 2 shown]
s_nop 1
v_mfma_f32_16x16x4_f32 a[0+0:3+0], v[vgprValuA_X0_I0+0+0+0], v[vgprValuB_X0_I0+0+0+0], a[0:3]
v_mfma_f32_16x16x4_f32 a[4+0:7+0], v[vgprValuA_X0_I0+1+0+0], v[vgprValuB_X0_I0+0+0+0], a[4:7]
	;; [unrolled: 1-line block ×12, first 2 shown]


/* closeLoop loopL finalLoop=0 tailLoop=1 */
s_sub_i32 s[sgprLoopCounterL], s[sgprLoopCounterL], 0x4 // dec counterL (tailLoop)
s_add_u32 s[sgprOrigLoopCounter], s[sgprOrigLoopCounter], 0x4 // inc counterL
s_cmp_le_i32 s[sgprLoopCounterL], 0x0              // counterL<=0
s_cbranch_scc1 TailLoopEndL_7                      // exit LoopL


/* tail loop unroll iter 1 */


/* local read a */

_ds_load_b32 v[vgprValuA_X1_I0+0], v[vgprLocalReadAddrA] offset:0 // L -> Reg lro=0 swapByteOffset=0 ti=32 vIdx=0 rIdx=0 oIdx=0 buffer=1 iui=0
_ds_load_b32 v[vgprValuA_X1_I0+1], v[vgprLocalReadAddrA] offset:128 // L -> Reg lro=0 swapByteOffset=0 ti=32 vIdx=1 rIdx=0 oIdx=0 buffer=1 iui=0
	;; [unrolled: 1-line block ×3, first 2 shown]


/* local read b */

_ds_load_b32 v[vgprValuB_X1_I0+0], v[vgprLocalReadAddrB] offset:0 // L -> Reg lro=0 swapByteOffset=0 ti=64 vIdx=0 rIdx=0 oIdx=0 buffer=1 iui=0
_ds_load_b32 v[vgprValuB_X1_I0+1], v[vgprLocalReadAddrB] offset:128 // L -> Reg lro=0 swapByteOffset=0 ti=64 vIdx=0 rIdx=0 oIdx=0 buffer=1 iui=0
	;; [unrolled: 1-line block ×4, first 2 shown]


/* local read inc a */

s_mov_b32 s56, 0x700                               // inc
_v_add_co_u32 v[vgprLocalReadAddrA], vcc, s56, v[vgprLocalReadAddrA] // lrA += 1792 (LSU*(MT+PAD)*bpe)


/* local read inc b */

s_mov_b32 s56, 0x10                                // inc
_v_add_co_u32 v[vgprLocalReadAddrB], vcc, s56, v[vgprLocalReadAddrB] // lrB += 16 (LSU*bpe)

s_waitcnt lgkmcnt(0)                               // lgkmcnt=0 vmcnt=-14wait for local read


	;; [unrolled: 1-line block ×3, first 2 shown]
/* tail loop mfma iter 1: numReadsIterCoalescedA=1, numReadsIterCoalescedB=1 */
v_and_b32 v91, 63, v[vgprSerial]                   // v91 = v[vgprSerial] % 64
v_lshrrev_b32 v91, 4, v91                          // v91 = v91 / 16
                                                   // v91 = v91 * 1 (multiplier is 1, do nothing)
v_cmp_ge_i32 s[84:85], v91, s[sgprLoopCounterL]    // check K index >= Size L
v_cndmask_b32 v[vgprValuB_X1_I0+0+0+0+0], v[vgprValuB_X1_I0+0+0+0+0], 0x0, s[84:85] // set 0 if K_idx >= sizeL
v_cndmask_b32 v[vgprValuB_X1_I0+1+0+0+0], v[vgprValuB_X1_I0+1+0+0+0], 0x0, s[84:85] // set 0 if K_idx >= sizeL
	;; [unrolled: 1-line block ×4, first 2 shown]
s_nop 1
v_mfma_f32_16x16x4_f32 a[0+0:3+0], v[vgprValuA_X1_I0+0+0+0], v[vgprValuB_X1_I0+0+0+0], a[0:3]
v_mfma_f32_16x16x4_f32 a[4+0:7+0], v[vgprValuA_X1_I0+1+0+0], v[vgprValuB_X1_I0+0+0+0], a[4:7]
	;; [unrolled: 1-line block ×12, first 2 shown]


/* closeLoop loopL finalLoop=0 tailLoop=1 */
s_sub_i32 s[sgprLoopCounterL], s[sgprLoopCounterL], 0x4 // dec counterL (tailLoop)
s_add_u32 s[sgprOrigLoopCounter], s[sgprOrigLoopCounter], 0x4 // inc counterL
s_cmp_le_i32 s[sgprLoopCounterL], 0x0              // counterL<=0
s_cbranch_scc1 TailLoopEndL_7                      // exit LoopL


/* tail loop unroll iter 2 */


/* local read a */

_ds_load_b32 v[vgprValuA_X2_I0+0], v[vgprLocalReadAddrA] offset:0 // L -> Reg lro=0 swapByteOffset=0 ti=32 vIdx=0 rIdx=0 oIdx=0 buffer=2 iui=0
_ds_load_b32 v[vgprValuA_X2_I0+1], v[vgprLocalReadAddrA] offset:128 // L -> Reg lro=0 swapByteOffset=0 ti=32 vIdx=1 rIdx=0 oIdx=0 buffer=2 iui=0
	;; [unrolled: 1-line block ×3, first 2 shown]


/* local read b */

_ds_load_b32 v[vgprValuB_X2_I0+0], v[vgprLocalReadAddrB] offset:0 // L -> Reg lro=0 swapByteOffset=0 ti=64 vIdx=0 rIdx=0 oIdx=0 buffer=2 iui=0
_ds_load_b32 v[vgprValuB_X2_I0+1], v[vgprLocalReadAddrB] offset:128 // L -> Reg lro=0 swapByteOffset=0 ti=64 vIdx=0 rIdx=0 oIdx=0 buffer=2 iui=0
	;; [unrolled: 1-line block ×4, first 2 shown]


/* local read inc a */

s_mov_b32 s56, 0x700                               // inc
_v_add_co_u32 v[vgprLocalReadAddrA], vcc, s56, v[vgprLocalReadAddrA] // lrA += 1792 (LSU*(MT+PAD)*bpe)


/* local read inc b */

s_mov_b32 s56, 0x10                                // inc
_v_add_co_u32 v[vgprLocalReadAddrB], vcc, s56, v[vgprLocalReadAddrB] // lrB += 16 (LSU*bpe)

s_waitcnt lgkmcnt(0)                               // lgkmcnt=0 vmcnt=-14wait for local read


	;; [unrolled: 1-line block ×3, first 2 shown]
/* tail loop mfma iter 2: numReadsIterCoalescedA=1, numReadsIterCoalescedB=1 */
v_and_b32 v91, 63, v[vgprSerial]                   // v91 = v[vgprSerial] % 64
v_lshrrev_b32 v91, 4, v91                          // v91 = v91 / 16
                                                   // v91 = v91 * 1 (multiplier is 1, do nothing)
v_cmp_ge_i32 s[84:85], v91, s[sgprLoopCounterL]    // check K index >= Size L
v_cndmask_b32 v[vgprValuB_X2_I0+0+0+0+0], v[vgprValuB_X2_I0+0+0+0+0], 0x0, s[84:85] // set 0 if K_idx >= sizeL
v_cndmask_b32 v[vgprValuB_X2_I0+1+0+0+0], v[vgprValuB_X2_I0+1+0+0+0], 0x0, s[84:85] // set 0 if K_idx >= sizeL
v_cndmask_b32 v[vgprValuB_X2_I0+2+0+0+0], v[vgprValuB_X2_I0+2+0+0+0], 0x0, s[84:85] // set 0 if K_idx >= sizeL
v_cndmask_b32 v[vgprValuB_X2_I0+3+0+0+0], v[vgprValuB_X2_I0+3+0+0+0], 0x0, s[84:85] // set 0 if K_idx >= sizeL
s_nop 1
v_mfma_f32_16x16x4_f32 a[0+0:3+0], v[vgprValuA_X2_I0+0+0+0], v[vgprValuB_X2_I0+0+0+0], a[0:3]
v_mfma_f32_16x16x4_f32 a[4+0:7+0], v[vgprValuA_X2_I0+1+0+0], v[vgprValuB_X2_I0+0+0+0], a[4:7]
	;; [unrolled: 1-line block ×12, first 2 shown]


/* closeLoop loopL finalLoop=0 tailLoop=1 */
s_sub_i32 s[sgprLoopCounterL], s[sgprLoopCounterL], 0x4 // dec counterL (tailLoop)
s_add_u32 s[sgprOrigLoopCounter], s[sgprOrigLoopCounter], 0x4 // inc counterL
s_cmp_le_i32 s[sgprLoopCounterL], 0x0              // counterL<=0
s_cbranch_scc1 TailLoopEndL_7                      // exit LoopL


/* tail loop unroll iter 3 */


/* local read a */

_ds_load_b32 v[vgprValuA_X3_I0+0], v[vgprLocalReadAddrA] offset:0 // L -> Reg lro=0 swapByteOffset=0 ti=32 vIdx=0 rIdx=0 oIdx=0 buffer=3 iui=0
_ds_load_b32 v[vgprValuA_X3_I0+1], v[vgprLocalReadAddrA] offset:128 // L -> Reg lro=0 swapByteOffset=0 ti=32 vIdx=1 rIdx=0 oIdx=0 buffer=3 iui=0
	;; [unrolled: 1-line block ×3, first 2 shown]


/* local read b */

_ds_load_b32 v[vgprValuB_X3_I0+0], v[vgprLocalReadAddrB] offset:0 // L -> Reg lro=0 swapByteOffset=0 ti=64 vIdx=0 rIdx=0 oIdx=0 buffer=3 iui=0
_ds_load_b32 v[vgprValuB_X3_I0+1], v[vgprLocalReadAddrB] offset:128 // L -> Reg lro=0 swapByteOffset=0 ti=64 vIdx=0 rIdx=0 oIdx=0 buffer=3 iui=0
	;; [unrolled: 1-line block ×4, first 2 shown]


/* local read inc a */

s_mov_b32 s56, 0x700                               // inc
_v_add_co_u32 v[vgprLocalReadAddrA], vcc, s56, v[vgprLocalReadAddrA] // lrA += 1792 (LSU*(MT+PAD)*bpe)


/* local read inc b */

s_mov_b32 s56, 0x10                                // inc
_v_add_co_u32 v[vgprLocalReadAddrB], vcc, s56, v[vgprLocalReadAddrB] // lrB += 16 (LSU*bpe)

s_waitcnt lgkmcnt(0)                               // lgkmcnt=0 vmcnt=-14wait for local read


	;; [unrolled: 1-line block ×3, first 2 shown]
/* tail loop mfma iter 3: numReadsIterCoalescedA=1, numReadsIterCoalescedB=1 */
v_and_b32 v91, 63, v[vgprSerial]                   // v91 = v[vgprSerial] % 64
v_lshrrev_b32 v91, 4, v91                          // v91 = v91 / 16
                                                   // v91 = v91 * 1 (multiplier is 1, do nothing)
v_cmp_ge_i32 s[84:85], v91, s[sgprLoopCounterL]    // check K index >= Size L
v_cndmask_b32 v[vgprValuB_X3_I0+0+0+0+0], v[vgprValuB_X3_I0+0+0+0+0], 0x0, s[84:85] // set 0 if K_idx >= sizeL
v_cndmask_b32 v[vgprValuB_X3_I0+1+0+0+0], v[vgprValuB_X3_I0+1+0+0+0], 0x0, s[84:85] // set 0 if K_idx >= sizeL
v_cndmask_b32 v[vgprValuB_X3_I0+2+0+0+0], v[vgprValuB_X3_I0+2+0+0+0], 0x0, s[84:85] // set 0 if K_idx >= sizeL
v_cndmask_b32 v[vgprValuB_X3_I0+3+0+0+0], v[vgprValuB_X3_I0+3+0+0+0], 0x0, s[84:85] // set 0 if K_idx >= sizeL
s_nop 1
v_mfma_f32_16x16x4_f32 a[0+0:3+0], v[vgprValuA_X3_I0+0+0+0], v[vgprValuB_X3_I0+0+0+0], a[0:3]
v_mfma_f32_16x16x4_f32 a[4+0:7+0], v[vgprValuA_X3_I0+1+0+0], v[vgprValuB_X3_I0+0+0+0], a[4:7]
	;; [unrolled: 1-line block ×12, first 2 shown]


/* closeLoop loopL finalLoop=0 tailLoop=1 */
s_sub_i32 s[sgprLoopCounterL], s[sgprLoopCounterL], 0x4 // dec counterL (tailLoop)
s_add_u32 s[sgprOrigLoopCounter], s[sgprOrigLoopCounter], 0x4 // inc counterL
s_cmp_le_i32 s[sgprLoopCounterL], 0x0              // counterL<=0
s_cbranch_scc1 TailLoopEndL_7                      // exit LoopL


/* tail loop unroll iter 4 */


/* local read a */

_ds_load_b32 v[vgprValuA_X4_I0+0], v[vgprLocalReadAddrA] offset:0 // L -> Reg lro=0 swapByteOffset=0 ti=32 vIdx=0 rIdx=0 oIdx=0 buffer=4 iui=0
_ds_load_b32 v[vgprValuA_X4_I0+1], v[vgprLocalReadAddrA] offset:128 // L -> Reg lro=0 swapByteOffset=0 ti=32 vIdx=1 rIdx=0 oIdx=0 buffer=4 iui=0
	;; [unrolled: 1-line block ×3, first 2 shown]


/* local read b */

_ds_load_b32 v[vgprValuB_X4_I0+0], v[vgprLocalReadAddrB] offset:0 // L -> Reg lro=0 swapByteOffset=0 ti=64 vIdx=0 rIdx=0 oIdx=0 buffer=4 iui=0
_ds_load_b32 v[vgprValuB_X4_I0+1], v[vgprLocalReadAddrB] offset:128 // L -> Reg lro=0 swapByteOffset=0 ti=64 vIdx=0 rIdx=0 oIdx=0 buffer=4 iui=0
	;; [unrolled: 1-line block ×4, first 2 shown]


/* local read inc a */

s_mov_b32 s56, 0x700                               // inc
_v_add_co_u32 v[vgprLocalReadAddrA], vcc, s56, v[vgprLocalReadAddrA] // lrA += 1792 (LSU*(MT+PAD)*bpe)


/* local read inc b */

s_mov_b32 s56, 0x10                                // inc
_v_add_co_u32 v[vgprLocalReadAddrB], vcc, s56, v[vgprLocalReadAddrB] // lrB += 16 (LSU*bpe)

s_waitcnt lgkmcnt(0)                               // lgkmcnt=0 vmcnt=-14wait for local read


	;; [unrolled: 1-line block ×3, first 2 shown]
/* tail loop mfma iter 4: numReadsIterCoalescedA=1, numReadsIterCoalescedB=1 */
v_and_b32 v91, 63, v[vgprSerial]                   // v91 = v[vgprSerial] % 64
v_lshrrev_b32 v91, 4, v91                          // v91 = v91 / 16
                                                   // v91 = v91 * 1 (multiplier is 1, do nothing)
v_cmp_ge_i32 s[84:85], v91, s[sgprLoopCounterL]    // check K index >= Size L
v_cndmask_b32 v[vgprValuB_X4_I0+0+0+0+0], v[vgprValuB_X4_I0+0+0+0+0], 0x0, s[84:85] // set 0 if K_idx >= sizeL
v_cndmask_b32 v[vgprValuB_X4_I0+1+0+0+0], v[vgprValuB_X4_I0+1+0+0+0], 0x0, s[84:85] // set 0 if K_idx >= sizeL
	;; [unrolled: 1-line block ×4, first 2 shown]
s_nop 1
v_mfma_f32_16x16x4_f32 a[0+0:3+0], v[vgprValuA_X4_I0+0+0+0], v[vgprValuB_X4_I0+0+0+0], a[0:3]
v_mfma_f32_16x16x4_f32 a[4+0:7+0], v[vgprValuA_X4_I0+1+0+0], v[vgprValuB_X4_I0+0+0+0], a[4:7]
	;; [unrolled: 1-line block ×12, first 2 shown]


/* closeLoop loopL finalLoop=0 tailLoop=1 */
s_sub_i32 s[sgprLoopCounterL], s[sgprLoopCounterL], 0x4 // dec counterL (tailLoop)
s_add_u32 s[sgprOrigLoopCounter], s[sgprOrigLoopCounter], 0x4 // inc counterL
s_cmp_le_i32 s[sgprLoopCounterL], 0x0              // counterL<=0
s_cbranch_scc1 TailLoopEndL_7                      // exit LoopL


/* tail loop unroll iter 5 */


/* local read a */

_ds_load_b32 v[vgprValuA_X5_I0+0], v[vgprLocalReadAddrA] offset:0 // L -> Reg lro=0 swapByteOffset=0 ti=32 vIdx=0 rIdx=0 oIdx=0 buffer=5 iui=0
_ds_load_b32 v[vgprValuA_X5_I0+1], v[vgprLocalReadAddrA] offset:128 // L -> Reg lro=0 swapByteOffset=0 ti=32 vIdx=1 rIdx=0 oIdx=0 buffer=5 iui=0
	;; [unrolled: 1-line block ×3, first 2 shown]


/* local read b */

_ds_load_b32 v[vgprValuB_X5_I0+0], v[vgprLocalReadAddrB] offset:0 // L -> Reg lro=0 swapByteOffset=0 ti=64 vIdx=0 rIdx=0 oIdx=0 buffer=5 iui=0
_ds_load_b32 v[vgprValuB_X5_I0+1], v[vgprLocalReadAddrB] offset:128 // L -> Reg lro=0 swapByteOffset=0 ti=64 vIdx=0 rIdx=0 oIdx=0 buffer=5 iui=0
	;; [unrolled: 1-line block ×4, first 2 shown]


/* local read inc a */

s_mov_b32 s56, 0x700                               // inc
_v_add_co_u32 v[vgprLocalReadAddrA], vcc, s56, v[vgprLocalReadAddrA] // lrA += 1792 (LSU*(MT+PAD)*bpe)


/* local read inc b */

s_mov_b32 s56, 0x10                                // inc
_v_add_co_u32 v[vgprLocalReadAddrB], vcc, s56, v[vgprLocalReadAddrB] // lrB += 16 (LSU*bpe)

s_waitcnt lgkmcnt(0)                               // lgkmcnt=0 vmcnt=-14wait for local read


	;; [unrolled: 1-line block ×3, first 2 shown]
/* tail loop mfma iter 5: numReadsIterCoalescedA=1, numReadsIterCoalescedB=1 */
v_and_b32 v91, 63, v[vgprSerial]                   // v91 = v[vgprSerial] % 64
v_lshrrev_b32 v91, 4, v91                          // v91 = v91 / 16
                                                   // v91 = v91 * 1 (multiplier is 1, do nothing)
v_cmp_ge_i32 s[84:85], v91, s[sgprLoopCounterL]    // check K index >= Size L
v_cndmask_b32 v[vgprValuB_X5_I0+0+0+0+0], v[vgprValuB_X5_I0+0+0+0+0], 0x0, s[84:85] // set 0 if K_idx >= sizeL
v_cndmask_b32 v[vgprValuB_X5_I0+1+0+0+0], v[vgprValuB_X5_I0+1+0+0+0], 0x0, s[84:85] // set 0 if K_idx >= sizeL
	;; [unrolled: 1-line block ×4, first 2 shown]
s_nop 1
v_mfma_f32_16x16x4_f32 a[0+0:3+0], v[vgprValuA_X5_I0+0+0+0], v[vgprValuB_X5_I0+0+0+0], a[0:3]
v_mfma_f32_16x16x4_f32 a[4+0:7+0], v[vgprValuA_X5_I0+1+0+0], v[vgprValuB_X5_I0+0+0+0], a[4:7]
v_mfma_f32_16x16x4_f32 a[8+0:11+0], v[vgprValuA_X5_I0+2+0+0], v[vgprValuB_X5_I0+0+0+0], a[8:11]
v_mfma_f32_16x16x4_f32 a[20+0:23+0], v[vgprValuA_X5_I0+2+0+0], v[vgprValuB_X5_I0+1+0+0], a[20:23]
v_mfma_f32_16x16x4_f32 a[16+0:19+0], v[vgprValuA_X5_I0+1+0+0], v[vgprValuB_X5_I0+1+0+0], a[16:19]
v_mfma_f32_16x16x4_f32 a[12+0:15+0], v[vgprValuA_X5_I0+0+0+0], v[vgprValuB_X5_I0+1+0+0], a[12:15]
v_mfma_f32_16x16x4_f32 a[24+0:27+0], v[vgprValuA_X5_I0+0+0+0], v[vgprValuB_X5_I0+2+0+0], a[24:27]
v_mfma_f32_16x16x4_f32 a[28+0:31+0], v[vgprValuA_X5_I0+1+0+0], v[vgprValuB_X5_I0+2+0+0], a[28:31]
v_mfma_f32_16x16x4_f32 a[32+0:35+0], v[vgprValuA_X5_I0+2+0+0], v[vgprValuB_X5_I0+2+0+0], a[32:35]
v_mfma_f32_16x16x4_f32 a[44+0:47+0], v[vgprValuA_X5_I0+2+0+0], v[vgprValuB_X5_I0+3+0+0], a[44:47]
v_mfma_f32_16x16x4_f32 a[40+0:43+0], v[vgprValuA_X5_I0+1+0+0], v[vgprValuB_X5_I0+3+0+0], a[40:43]
v_mfma_f32_16x16x4_f32 a[36+0:39+0], v[vgprValuA_X5_I0+0+0+0], v[vgprValuB_X5_I0+3+0+0], a[36:39]


/* closeLoop loopL finalLoop=0 tailLoop=1 */
s_sub_i32 s[sgprLoopCounterL], s[sgprLoopCounterL], 0x4 // dec counterL (tailLoop)
s_add_u32 s[sgprOrigLoopCounter], s[sgprOrigLoopCounter], 0x4 // inc counterL
s_cmp_le_i32 s[sgprLoopCounterL], 0x0              // counterL<=0
s_cbranch_scc1 TailLoopEndL_7                      // exit LoopL


/* tail loop unroll iter 6 */


/* local read a */

_ds_load_b32 v[vgprValuA_X6_I0+0], v[vgprLocalReadAddrA] offset:0 // L -> Reg lro=0 swapByteOffset=0 ti=32 vIdx=0 rIdx=0 oIdx=0 buffer=6 iui=0
_ds_load_b32 v[vgprValuA_X6_I0+1], v[vgprLocalReadAddrA] offset:128 // L -> Reg lro=0 swapByteOffset=0 ti=32 vIdx=1 rIdx=0 oIdx=0 buffer=6 iui=0
	;; [unrolled: 1-line block ×3, first 2 shown]


/* local read b */

_ds_load_b32 v[vgprValuB_X6_I0+0], v[vgprLocalReadAddrB] offset:0 // L -> Reg lro=0 swapByteOffset=0 ti=64 vIdx=0 rIdx=0 oIdx=0 buffer=6 iui=0
_ds_load_b32 v[vgprValuB_X6_I0+1], v[vgprLocalReadAddrB] offset:128 // L -> Reg lro=0 swapByteOffset=0 ti=64 vIdx=0 rIdx=0 oIdx=0 buffer=6 iui=0
	;; [unrolled: 1-line block ×4, first 2 shown]


/* local read inc a */

s_mov_b32 s56, 0x700                               // inc
_v_add_co_u32 v[vgprLocalReadAddrA], vcc, s56, v[vgprLocalReadAddrA] // lrA += 1792 (LSU*(MT+PAD)*bpe)


/* local read inc b */

s_mov_b32 s56, 0x10                                // inc
_v_add_co_u32 v[vgprLocalReadAddrB], vcc, s56, v[vgprLocalReadAddrB] // lrB += 16 (LSU*bpe)

s_waitcnt lgkmcnt(0)                               // lgkmcnt=0 vmcnt=-14wait for local read


	;; [unrolled: 1-line block ×3, first 2 shown]
/* tail loop mfma iter 6: numReadsIterCoalescedA=1, numReadsIterCoalescedB=1 */
v_and_b32 v91, 63, v[vgprSerial]                   // v91 = v[vgprSerial] % 64
v_lshrrev_b32 v91, 4, v91                          // v91 = v91 / 16
                                                   // v91 = v91 * 1 (multiplier is 1, do nothing)
v_cmp_ge_i32 s[84:85], v91, s[sgprLoopCounterL]    // check K index >= Size L
v_cndmask_b32 v[vgprValuB_X6_I0+0+0+0+0], v[vgprValuB_X6_I0+0+0+0+0], 0x0, s[84:85] // set 0 if K_idx >= sizeL
v_cndmask_b32 v[vgprValuB_X6_I0+1+0+0+0], v[vgprValuB_X6_I0+1+0+0+0], 0x0, s[84:85] // set 0 if K_idx >= sizeL
	;; [unrolled: 1-line block ×4, first 2 shown]
s_nop 1
v_mfma_f32_16x16x4_f32 a[0+0:3+0], v[vgprValuA_X6_I0+0+0+0], v[vgprValuB_X6_I0+0+0+0], a[0:3]
v_mfma_f32_16x16x4_f32 a[4+0:7+0], v[vgprValuA_X6_I0+1+0+0], v[vgprValuB_X6_I0+0+0+0], a[4:7]
	;; [unrolled: 1-line block ×12, first 2 shown]


/* closeLoop loopL finalLoop=0 tailLoop=1 */
s_sub_i32 s[sgprLoopCounterL], s[sgprLoopCounterL], 0x4 // dec counterL (tailLoop)
s_add_u32 s[sgprOrigLoopCounter], s[sgprOrigLoopCounter], 0x4 // inc counterL
s_cmp_le_i32 s[sgprLoopCounterL], 0x0              // counterL<=0
s_cbranch_scc1 TailLoopEndL_7                      // exit LoopL


/* tail loop unroll iter 7 */


/* local read a */

_ds_load_b32 v[vgprValuA_X7_I0+0], v[vgprLocalReadAddrA] offset:0 // L -> Reg lro=0 swapByteOffset=0 ti=32 vIdx=0 rIdx=0 oIdx=0 buffer=7 iui=0
_ds_load_b32 v[vgprValuA_X7_I0+1], v[vgprLocalReadAddrA] offset:128 // L -> Reg lro=0 swapByteOffset=0 ti=32 vIdx=1 rIdx=0 oIdx=0 buffer=7 iui=0
	;; [unrolled: 1-line block ×3, first 2 shown]


/* local read b */

_ds_load_b32 v[vgprValuB_X7_I0+0], v[vgprLocalReadAddrB] offset:0 // L -> Reg lro=0 swapByteOffset=0 ti=64 vIdx=0 rIdx=0 oIdx=0 buffer=7 iui=0
_ds_load_b32 v[vgprValuB_X7_I0+1], v[vgprLocalReadAddrB] offset:128 // L -> Reg lro=0 swapByteOffset=0 ti=64 vIdx=0 rIdx=0 oIdx=0 buffer=7 iui=0
	;; [unrolled: 1-line block ×4, first 2 shown]


/* local read inc a */

s_mov_b32 s56, 0x700                               // inc
_v_add_co_u32 v[vgprLocalReadAddrA], vcc, s56, v[vgprLocalReadAddrA] // lrA += 1792 (LSU*(MT+PAD)*bpe)


/* local read inc b */

s_mov_b32 s56, 0x10                                // inc
_v_add_co_u32 v[vgprLocalReadAddrB], vcc, s56, v[vgprLocalReadAddrB] // lrB += 16 (LSU*bpe)

s_waitcnt lgkmcnt(0)                               // lgkmcnt=0 vmcnt=-14wait for local read


	;; [unrolled: 1-line block ×3, first 2 shown]
/* tail loop mfma iter 7: numReadsIterCoalescedA=1, numReadsIterCoalescedB=1 */
v_and_b32 v91, 63, v[vgprSerial]                   // v91 = v[vgprSerial] % 64
v_lshrrev_b32 v91, 4, v91                          // v91 = v91 / 16
                                                   // v91 = v91 * 1 (multiplier is 1, do nothing)
v_cmp_ge_i32 s[84:85], v91, s[sgprLoopCounterL]    // check K index >= Size L
v_cndmask_b32 v[vgprValuB_X7_I0+0+0+0+0], v[vgprValuB_X7_I0+0+0+0+0], 0x0, s[84:85] // set 0 if K_idx >= sizeL
v_cndmask_b32 v[vgprValuB_X7_I0+1+0+0+0], v[vgprValuB_X7_I0+1+0+0+0], 0x0, s[84:85] // set 0 if K_idx >= sizeL
	;; [unrolled: 1-line block ×4, first 2 shown]
s_nop 1
v_mfma_f32_16x16x4_f32 a[0+0:3+0], v[vgprValuA_X7_I0+0+0+0], v[vgprValuB_X7_I0+0+0+0], a[0:3]
v_mfma_f32_16x16x4_f32 a[4+0:7+0], v[vgprValuA_X7_I0+1+0+0], v[vgprValuB_X7_I0+0+0+0], a[4:7]
	;; [unrolled: 1-line block ×12, first 2 shown]


/* closeLoop loopL finalLoop=1 tailLoop=1 */
s_sub_i32 s[sgprLoopCounterL], s[sgprLoopCounterL], 0x4 // dec counterL (tailLoop)
s_add_u32 s[sgprOrigLoopCounter], s[sgprOrigLoopCounter], 0x4 // inc counterL
s_cmp_le_i32 s[sgprLoopCounterL], 0x0              // counterL<=0
s_cbranch_scc0 TailLoopBeginL_6                    // restart LoopL
TailLoopEndL_7:

SkipTailLoopL_8:

Summation_End_28:
/* endSummation: add vgpr [0...88) to pool */
.set NumFullBlocks, UNDEF
.set WgmRemainder1, UNDEF
.set MagicNumberWgmRemainder1, UNDEF
.set ScalarGlobalReadOffsetA, UNDEF
.set ScalarGlobalReadOffsetB, UNDEF

/* Mapping of Acc register -> C Vgpr register */


	;; [unrolled: 1-line block ×3, first 2 shown]
/* not-LocalSplitU: global write indices */

/* computeStoreVgprs */
v_lshrrev_b32 v4, 6, v[vgprSerial]                 // v4 = v[vgprSerial] / 64
v_lshrrev_b32 v1, 1, v4                            // v1 = v4 / 2
v_mul_lo_u32 v1, 0x10, v1                          // wave coordination offset 1
v_and_b32 v5, 15, v[vgprSerial]                    // v5 = v[vgprSerial] % 16
_v_add_lshl_u32 v1, v5, v1, 1                      // coordination 1 = vwb *(wave_id1 + tid1)
v_mul_lo_u32 v2, v1, s[sgprStrideC1J]              //  offset 1
v_mul_lo_u32 v3, v1, s[sgprStrideD1J]              //  offset 1
v_and_b32 v0, 63, v[vgprSerial]                    // v0 = v[vgprSerial] % 64
v_lshrrev_b32 v0, 4, v0                            // v0 = v0 / 16
v_lshlrev_b32 v0, 0x2, v0                          // thread0 * continuous_output
v_and_b32 v5, 1, v4                                // v5 = v4 % 2
v_mul_lo_u32 v5, 0x10, v5                          // wave coordination offset 0
_v_add_lshl_u32 v0, v5, v0, 0                      // coordination 0 = vwa *(wave_id0 + tid0)
s_mul_i32 s53, 96, s[sgprWorkGroup0]               // wgp0 * MT0
_v_add_u32 v0, s53, v0                             // coord 0 = (tid0/MI_m)*4 + waveG0*MIB_m + MT0*SG0
s_mul_i32 s53, 128, s[sgprWorkGroup1]              // wgp1 * MT1
_v_add_u32 v1, s53, v1                             // coord 1 = (tid0%MI_m) + waveG1*MIB_n + MT1*SG1


/* not-LocalSplitU: global write */

s_cmpk_eq_u32 s[sgprBeta], 0x0                     // Beta == 0
s_cbranch_scc0 GW_Beta_43                          // Branch if Beta is not zero

s_mov_b32 s57, 0x0                                 // STATIC_DIV: divisior=96
s_mul_i32 s56, 0x555, s[sgprSizeI]                 // tmp1 = dividend * magic hi
s_lshl_b64 s[56:57], s[56:57], 0x10                // left shift 16 bits
s_mul_i32 s55, s[sgprSizeI], 0x5556                // tmp0 = dividend * magic lo
s_add_u32 s56, s55, s56                            // add lo
s_addc_u32 s57, s57, 0x0                           // add hi
s_lshr_b64 s[56:57], s[56:57], 0x21                // tmp1 = (dividend * magic) << shift
s_mov_b32 s55, s56                                 // quotient
s_mul_i32 s56, s55, 0x60                           // quotient*divisor
s_sub_u32 s54, s[sgprSizeI], s56                   // rReg = dividend - quotient*divisor
s_add_u32 s55, -0x1, s[sgprNumWorkGroups0]         // 
s_cmp_ge_u32 s[sgprWorkGroup0], s55                // wg0 >= nwg0-1 ?
s_cselect_b32 s54, s54, 0                          // set rMT0
s_cmpk_gt_u32 s54, 0x0                             // rMT0 > 0
s_cbranch_scc1 GW_B0_E1_34                         // jump if edges required
s_and_b32 s54, 127, s[sgprSizeJ]                   // s54 = s[sgprSizeJ] % 128
s_add_u32 s55, -0x1, s[sgprNumWorkGroups1]         // 
s_cmp_ge_u32 s[sgprWorkGroup1], s55                // wg1 >= nwg1-1
s_cselect_b32 s54, s54, 0                          // set rMT1
s_cmpk_gt_u32 s54, 0x0                             // rMT1 > 0
s_cbranch_scc1 GW_B0_E1_34                         // jump if edges required
GW_B0_E0_31:

/* edge=0, allocate 2 sgpr. perBatchTmpS=2 perBatchMaskS=0 perElementMaskS=0 elementsPerBatch=49 */
/* optSingleColVgpr=1 optSharedColVgpr=0 optSGPRUsage=BufferLoad_Mask optSrdIncForRow=1 */

/******************************************/
/* Global Write Alpha Batch #0 (d1,d0,vc1,vc0) = */
/*    (0,0,0,0:vw4); (0,1,0,0:vw4); (0,2,0,0:vw4); (0,0,1,0:vw4); (0,1,1,0:vw4); (0,2,1,0:vw4); (1,0,0,0:vw4); (1,1,0,0:vw4); (1,2,0,0:vw4); (1,0,1,0:vw4); (1,1,1,0:vw4); (1,2,1,0:vw4) */
/******************************************/

/* calc coords, apply mask, and issue loads (if necessary) */
/* (d1,vc1,d0,vc0)=(0,0,0,0) */
/* (d1,vc1,d0,vc0)=(0,0,1,0) */
	;; [unrolled: 1-line block ×12, first 2 shown]
_v_add_lshl_u32 v6, v3, v0, 0x2                    // optSingleColVgpr scaleToBpe: sharedAddrVgpr <- cinRowPtr + coord0, scaled by BPE. BSHERE:coord0=0, coord0Vgpr=0
v_accvgpr_read_b32 v[vgprValuC+8], acc0 // copy acc to vreg[0]
v_accvgpr_read_b32 v[vgprValuC+9], acc1 // copy acc to vreg[1]
v_accvgpr_read_b32 v[vgprValuC+10], acc2 // copy acc to vreg[2]
v_accvgpr_read_b32 v[vgprValuC+11], acc3 // copy acc to vreg[3]
v_accvgpr_read_b32 v[vgprValuC+12], acc4 // copy acc to vreg[4]
v_accvgpr_read_b32 v[vgprValuC+13], acc5 // copy acc to vreg[5]
v_accvgpr_read_b32 v[vgprValuC+14], acc6 // copy acc to vreg[6]
v_accvgpr_read_b32 v[vgprValuC+15], acc7 // copy acc to vreg[7]
v_accvgpr_read_b32 v[vgprValuC+16], acc8 // copy acc to vreg[8]
v_accvgpr_read_b32 v[vgprValuC+17], acc9 // copy acc to vreg[9]
v_accvgpr_read_b32 v[vgprValuC+18], acc10 // copy acc to vreg[10]
v_accvgpr_read_b32 v[vgprValuC+19], acc11 // copy acc to vreg[11]
v_accvgpr_read_b32 v[vgprValuC+20], acc12 // copy acc to vreg[12]
v_accvgpr_read_b32 v[vgprValuC+21], acc13 // copy acc to vreg[13]
v_accvgpr_read_b32 v[vgprValuC+22], acc14 // copy acc to vreg[14]
v_accvgpr_read_b32 v[vgprValuC+23], acc15 // copy acc to vreg[15]
v_accvgpr_read_b32 v[vgprValuC+24], acc16 // copy acc to vreg[16]
v_accvgpr_read_b32 v[vgprValuC+25], acc17 // copy acc to vreg[17]
v_accvgpr_read_b32 v[vgprValuC+26], acc18 // copy acc to vreg[18]
v_accvgpr_read_b32 v[vgprValuC+27], acc19 // copy acc to vreg[19]
v_accvgpr_read_b32 v[vgprValuC+28], acc20 // copy acc to vreg[20]
v_accvgpr_read_b32 v[vgprValuC+29], acc21 // copy acc to vreg[21]
v_accvgpr_read_b32 v[vgprValuC+30], acc22 // copy acc to vreg[22]
v_accvgpr_read_b32 v[vgprValuC+31], acc23 // copy acc to vreg[23]
v_accvgpr_read_b32 v[vgprValuC+32], acc24 // copy acc to vreg[24]
v_accvgpr_read_b32 v[vgprValuC+33], acc25 // copy acc to vreg[25]
v_accvgpr_read_b32 v[vgprValuC+34], acc26 // copy acc to vreg[26]
v_accvgpr_read_b32 v[vgprValuC+35], acc27 // copy acc to vreg[27]
v_accvgpr_read_b32 v[vgprValuC+36], acc28 // copy acc to vreg[28]
v_accvgpr_read_b32 v[vgprValuC+37], acc29 // copy acc to vreg[29]
v_accvgpr_read_b32 v[vgprValuC+38], acc30 // copy acc to vreg[30]
v_accvgpr_read_b32 v[vgprValuC+39], acc31 // copy acc to vreg[31]
v_accvgpr_read_b32 v[vgprValuC+40], acc32 // copy acc to vreg[32]
v_accvgpr_read_b32 v[vgprValuC+41], acc33 // copy acc to vreg[33]
v_accvgpr_read_b32 v[vgprValuC+42], acc34 // copy acc to vreg[34]
v_accvgpr_read_b32 v[vgprValuC+43], acc35 // copy acc to vreg[35]
v_accvgpr_read_b32 v[vgprValuC+44], acc36 // copy acc to vreg[36]
v_accvgpr_read_b32 v[vgprValuC+45], acc37 // copy acc to vreg[37]
v_accvgpr_read_b32 v[vgprValuC+46], acc38 // copy acc to vreg[38]
v_accvgpr_read_b32 v[vgprValuC+47], acc39 // copy acc to vreg[39]
v_accvgpr_read_b32 v[vgprValuC+48], acc40 // copy acc to vreg[40]
v_accvgpr_read_b32 v[vgprValuC+49], acc41 // copy acc to vreg[41]
v_accvgpr_read_b32 v[vgprValuC+50], acc42 // copy acc to vreg[42]
v_accvgpr_read_b32 v[vgprValuC+51], acc43 // copy acc to vreg[43]
v_accvgpr_read_b32 v[vgprValuC+52], acc44 // copy acc to vreg[44]
v_accvgpr_read_b32 v[vgprValuC+53], acc45 // copy acc to vreg[45]
v_accvgpr_read_b32 v[vgprValuC+54], acc46 // copy acc to vreg[46]
v_accvgpr_read_b32 v[vgprValuC+55], acc47 // copy acc to vreg[47]
s_nop 1                                            // 2 wait states required before reading vgpr

/* rC *= alpha batchElements=[(0, 0, 0, 0), (0, 1, 0, 0), (0, 2, 0, 0), (0, 0, 1, 0), (0, 1, 1, 0), (0, 2, 1, 0), (1, 0, 0, 0), (1, 1, 0, 0), (1, 2, 0, 0), (1, 0, 1, 0), (1, 1, 1, 0), (1, 2, 1, 0)] */
v_mul_f32 v[vgprValuC+8], s[sgprAlpha], v[vgprValuC+8] // *= alpha
v_mul_f32 v[vgprValuC+9], s[sgprAlpha], v[vgprValuC+9] // *= alpha
	;; [unrolled: 1-line block ×48, first 2 shown]

/* apply mask, calc new C and issue writes */
_buffer_store_b128 v[8:11], v6, s[sgprSrdD:sgprSrdD+3], 0, offen, offset:0 // store D
_buffer_store_b128 v[12:15], v6, s[sgprSrdD:sgprSrdD+3], 0, offen, offset:128 // store D
	;; [unrolled: 1-line block ×3, first 2 shown]
s_lshl_b32  s54, s[sgprStrideD1J], 2               // incToNextRow: Scale by BPE
s_add_u32  s[sgprSrdD+0], s[sgprSrdD+0], s54       // incToNextRow: gra SRD += inc(lower)
s_addc_u32  s[sgprSrdD+1], s[sgprSrdD+1], 0        // incToNextRow: gra SRD += inc(upper)
_buffer_store_b128 v[20:23], v6, s[sgprSrdD:sgprSrdD+3], 0, offen, offset:0 // store D
_buffer_store_b128 v[24:27], v6, s[sgprSrdD:sgprSrdD+3], 0, offen, offset:128 // store D
	;; [unrolled: 1-line block ×3, first 2 shown]
s_mul_i32 s54, s[sgprStrideD1J], 252               // scale StrideD *= numRows(63) * bpe
s_add_u32  s[sgprSrdD+0], s[sgprSrdD+0], s54       // incToNextRow: gra SRD += inc(lower)
s_addc_u32  s[sgprSrdD+1], s[sgprSrdD+1], 0        // incToNextRow: gra SRD += inc(upper)
_buffer_store_b128 v[32:35], v6, s[sgprSrdD:sgprSrdD+3], 0, offen, offset:0 // store D
_buffer_store_b128 v[36:39], v6, s[sgprSrdD:sgprSrdD+3], 0, offen, offset:128 // store D
	;; [unrolled: 1-line block ×3, first 2 shown]
s_lshl_b32  s54, s[sgprStrideD1J], 2               // incToNextRow: Scale by BPE
s_add_u32  s[sgprSrdD+0], s[sgprSrdD+0], s54       // incToNextRow: gra SRD += inc(lower)
s_addc_u32  s[sgprSrdD+1], s[sgprSrdD+1], 0        // incToNextRow: gra SRD += inc(upper)
_buffer_store_b128 v[44:47], v6, s[sgprSrdD:sgprSrdD+3], 0, offen, offset:0 // store D
_buffer_store_b128 v[48:51], v6, s[sgprSrdD:sgprSrdD+3], 0, offen, offset:128 // store D
	;; [unrolled: 1-line block ×3, first 2 shown]
s_nop 0                                            // 1 wait state required when next inst writes vgprs held by previous dwordx4 store inst
s_branch label_GW_End_42                           // jump to end
GW_B0_E1_34:

/* edge=1, allocate 6 sgpr. perBatchTmpS=4 perBatchMaskS=2 perElementMaskS=0 elementsPerBatch=99 */
/* optSingleColVgpr=0 optSharedColVgpr=0 optSGPRUsage=BufferLoad_Edge_Mask optSrdIncForRow=0 */

/******************************************/
/* Global Write Alpha Edge Batch #0 (d1,d0,vc1,vc0) = */
/*    (0,0,0,0:vw1); (0,0,0,1:vw1); (0,0,0,2:vw1); (0,0,0,3:vw1); (0,1,0,0:vw1); (0,1,0,1:vw1); (0,1,0,2:vw1); (0,1,0,3:vw1); (0,2,0,0:vw1); (0,2,0,1:vw1); (0,2,0,2:vw1); (0,2,0,3:vw1); (0,0,1,0:vw1); (0,0,1,1:vw1); (0,0,1,2:vw1); (0,0,1,3:vw1); (0,1,1,0:vw1); (0,1,1,1:vw1); (0,1,1,2:vw1); (0,1,1,3:vw1); (0,2,1,0:vw1); (0,2,1,1:vw1); (0,2,1,2:vw1); (0,2,1,3:vw1); (1,0,0,0:vw1); (1,0,0,1:vw1); (1,0,0,2:vw1); (1,0,0,3:vw1); (1,1,0,0:vw1); (1,1,0,1:vw1); (1,1,0,2:vw1); (1,1,0,3:vw1); (1,2,0,0:vw1); (1,2,0,1:vw1); (1,2,0,2:vw1); (1,2,0,3:vw1); (1,0,1,0:vw1); (1,0,1,1:vw1); (1,0,1,2:vw1); (1,0,1,3:vw1); (1,1,1,0:vw1); (1,1,1,1:vw1); (1,1,1,2:vw1); (1,1,1,3:vw1); (1,2,1,0:vw1); (1,2,1,1:vw1); (1,2,1,2:vw1); (1,2,1,3:vw1) */
/******************************************/

/* calc coords, apply mask, and issue loads (if necessary) */
/* (d1,vc1,d0,vc0)=(0,0,0,0) */
v_cmp_lt_u32 s[54:55], v0, s[sgprSizeI]            // coord0 < size0
v_cmp_lt_u32 s[58:59], v1, s[sgprSizeJ]            // coord1 < size1
s_and_b64 s[58:59], s[54:55], s[58:59]             // in0 && in1
_v_add_lshl_u32 v6, v3, v0, 0x2                    // scaleToBpe: accumulate d0 lower and *= bpe into Cin addr
v_cndmask_b32 v6, -1, v6, s[58:59]                 // LDD clip if OOB. offset
/* (d1,vc1,d0,vc0)=(0,0,0,1) */
_v_add_co_u32 v4, vcc, v0, 1                       // coord0.1: coord0 += d0*sg0*VW + vc0
v_cmp_lt_u32 s[54:55], v4, s[sgprSizeI]            // coord0 < size0
v_cmp_lt_u32 s[58:59], v1, s[sgprSizeJ]            // coord1 < size1
s_and_b64 s[58:59], s[54:55], s[58:59]             // in0 && in1
_v_add_lshl_u32 v8, v3, v4, 0x2                    // scaleToBpe: accumulate d0 lower and *= bpe into Cin addr
v_cndmask_b32 v8, -1, v8, s[58:59]                 // LDD clip if OOB. offset
/* (d1,vc1,d0,vc0)=(0,0,0,2) */
_v_add_co_u32 v4, vcc, v0, 2                       // coord0.1: coord0 += d0*sg0*VW + vc0
v_cmp_lt_u32 s[54:55], v4, s[sgprSizeI]            // coord0 < size0
v_cmp_lt_u32 s[58:59], v1, s[sgprSizeJ]            // coord1 < size1
s_and_b64 s[58:59], s[54:55], s[58:59]             // in0 && in1
_v_add_lshl_u32 v10, v3, v4, 0x2                   // scaleToBpe: accumulate d0 lower and *= bpe into Cin addr
v_cndmask_b32 v10, -1, v10, s[58:59]               // LDD clip if OOB. offset
/* (d1,vc1,d0,vc0)=(0,0,0,3) */
_v_add_co_u32 v4, vcc, v0, 3                       // coord0.1: coord0 += d0*sg0*VW + vc0
v_cmp_lt_u32 s[54:55], v4, s[sgprSizeI]            // coord0 < size0
v_cmp_lt_u32 s[58:59], v1, s[sgprSizeJ]            // coord1 < size1
s_and_b64 s[58:59], s[54:55], s[58:59]             // in0 && in1
_v_add_lshl_u32 v12, v3, v4, 0x2                   // scaleToBpe: accumulate d0 lower and *= bpe into Cin addr
v_cndmask_b32 v12, -1, v12, s[58:59]               // LDD clip if OOB. offset
/* (d1,vc1,d0,vc0)=(0,0,1,0) */
_v_add_co_u32 v4, vcc, v0, 32                      // coord0.1: coord0 += d0*sg0*VW + vc0
v_cmp_lt_u32 s[54:55], v4, s[sgprSizeI]            // coord0 < size0
v_cmp_lt_u32 s[58:59], v1, s[sgprSizeJ]            // coord1 < size1
s_and_b64 s[58:59], s[54:55], s[58:59]             // in0 && in1
_v_add_lshl_u32 v14, v3, v4, 0x2                   // scaleToBpe: accumulate d0 lower and *= bpe into Cin addr
v_cndmask_b32 v14, -1, v14, s[58:59]               // LDD clip if OOB. offset
/* (d1,vc1,d0,vc0)=(0,0,1,1) */
_v_add_co_u32 v4, vcc, v0, 33                      // coord0.1: coord0 += d0*sg0*VW + vc0
	;; [unrolled: 7-line block ×5, first 2 shown]
v_cmp_lt_u32 s[54:55], v4, s[sgprSizeI]            // coord0 < size0
v_cmp_lt_u32 s[58:59], v1, s[sgprSizeJ]            // coord1 < size1
s_and_b64 s[58:59], s[54:55], s[58:59]             // in0 && in1
_v_add_lshl_u32 v22, v3, v4, 0x2                   // scaleToBpe: accumulate d0 lower and *= bpe into Cin addr
v_cndmask_b32 v22, -1, v22, s[58:59]               // LDD clip if OOB. offset
/* (d1,vc1,d0,vc0)=(0,0,2,1) */
s_mov_b32 s54, 65                                  // coordOffset0 d0=2 vc0=1
_v_add_co_u32 v4, vcc, v0, s54                     // coord0.2: coord0 += d0*sg0*VW + vc0
v_cmp_lt_u32 s[54:55], v4, s[sgprSizeI]            // coord0 < size0
v_cmp_lt_u32 s[58:59], v1, s[sgprSizeJ]            // coord1 < size1
s_and_b64 s[58:59], s[54:55], s[58:59]             // in0 && in1
_v_add_lshl_u32 v24, v3, v4, 0x2                   // scaleToBpe: accumulate d0 lower and *= bpe into Cin addr
v_cndmask_b32 v24, -1, v24, s[58:59]               // LDD clip if OOB. offset
/* (d1,vc1,d0,vc0)=(0,0,2,2) */
s_mov_b32 s54, 66                                  // coordOffset0 d0=2 vc0=2
_v_add_co_u32 v4, vcc, v0, s54                     // coord0.2: coord0 += d0*sg0*VW + vc0
	;; [unrolled: 8-line block ×3, first 2 shown]
v_cmp_lt_u32 s[54:55], v4, s[sgprSizeI]            // coord0 < size0
v_cmp_lt_u32 s[58:59], v1, s[sgprSizeJ]            // coord1 < size1
s_and_b64 s[58:59], s[54:55], s[58:59]             // in0 && in1
_v_add_lshl_u32 v28, v3, v4, 0x2                   // scaleToBpe: accumulate d0 lower and *= bpe into Cin addr
v_cndmask_b32 v28, -1, v28, s[58:59]               // LDD clip if OOB. offset
/* (d1,vc1,d0,vc0)=(0,1,0,0) */
_v_add_co_u32 v1, vcc, v1, 1                       // coord1.1: coord1Vgpr += d1*sg1*VW + vc1

/* Fix for UseInitialStridesCD, emitAddressSetupCode */
_v_add_u32 v2, v2, s[sgprStrideC1J]                // ROWINC- Move cinRowPtr to next row
_v_add_u32 v3, v3, s[sgprStrideD1J]                // Move coutRowPtr to next row
v_cmp_lt_u32 s[54:55], v0, s[sgprSizeI]            // coord0 < size0
v_cmp_lt_u32 s[58:59], v1, s[sgprSizeJ]            // coord1 < size1
s_and_b64 s[58:59], s[54:55], s[58:59]             // in0 && in1
_v_add_lshl_u32 v30, v3, v0, 0x2                   // scaleToBpe: accumulate d0 lower and *= bpe into Cin addr
v_cndmask_b32 v30, -1, v30, s[58:59]               // LDD clip if OOB. offset
/* (d1,vc1,d0,vc0)=(0,1,0,1) */
_v_add_co_u32 v4, vcc, v0, 1                       // coord0.1: coord0 += d0*sg0*VW + vc0
v_cmp_lt_u32 s[54:55], v4, s[sgprSizeI]            // coord0 < size0
v_cmp_lt_u32 s[58:59], v1, s[sgprSizeJ]            // coord1 < size1
s_and_b64 s[58:59], s[54:55], s[58:59]             // in0 && in1
_v_add_lshl_u32 v32, v3, v4, 0x2                   // scaleToBpe: accumulate d0 lower and *= bpe into Cin addr
v_cndmask_b32 v32, -1, v32, s[58:59]               // LDD clip if OOB. offset
/* (d1,vc1,d0,vc0)=(0,1,0,2) */
_v_add_co_u32 v4, vcc, v0, 2                       // coord0.1: coord0 += d0*sg0*VW + vc0
	;; [unrolled: 7-line block ×3, first 2 shown]
v_cmp_lt_u32 s[54:55], v4, s[sgprSizeI]            // coord0 < size0
v_cmp_lt_u32 s[58:59], v1, s[sgprSizeJ]            // coord1 < size1
s_and_b64 s[58:59], s[54:55], s[58:59]             // in0 && in1
_v_add_lshl_u32 v36, v3, v4, 0x2                   // scaleToBpe: accumulate d0 lower and *= bpe into Cin addr
v_cndmask_b32 v36, -1, v36, s[58:59]               // LDD clip if OOB. offset
/* (d1,vc1,d0,vc0)=(0,1,1,0) */
_v_add_co_u32 v4, vcc, v0, 32                      // coord0.1: coord0 += d0*sg0*VW + vc0
v_cmp_lt_u32 s[54:55], v4, s[sgprSizeI]            // coord0 < size0
v_cmp_lt_u32 s[58:59], v1, s[sgprSizeJ]            // coord1 < size1
s_and_b64 s[58:59], s[54:55], s[58:59]             // in0 && in1
_v_add_lshl_u32 v38, v3, v4, 0x2                   // scaleToBpe: accumulate d0 lower and *= bpe into Cin addr
v_cndmask_b32 v38, -1, v38, s[58:59]               // LDD clip if OOB. offset
/* (d1,vc1,d0,vc0)=(0,1,1,1) */
_v_add_co_u32 v4, vcc, v0, 33                      // coord0.1: coord0 += d0*sg0*VW + vc0
	;; [unrolled: 7-line block ×5, first 2 shown]
v_cmp_lt_u32 s[54:55], v4, s[sgprSizeI]            // coord0 < size0
v_cmp_lt_u32 s[58:59], v1, s[sgprSizeJ]            // coord1 < size1
s_and_b64 s[58:59], s[54:55], s[58:59]             // in0 && in1
_v_add_lshl_u32 v46, v3, v4, 0x2                   // scaleToBpe: accumulate d0 lower and *= bpe into Cin addr
v_cndmask_b32 v46, -1, v46, s[58:59]               // LDD clip if OOB. offset
/* (d1,vc1,d0,vc0)=(0,1,2,1) */
s_mov_b32 s54, 65                                  // coordOffset0 d0=2 vc0=1
_v_add_co_u32 v4, vcc, v0, s54                     // coord0.2: coord0 += d0*sg0*VW + vc0
v_cmp_lt_u32 s[54:55], v4, s[sgprSizeI]            // coord0 < size0
v_cmp_lt_u32 s[58:59], v1, s[sgprSizeJ]            // coord1 < size1
s_and_b64 s[58:59], s[54:55], s[58:59]             // in0 && in1
_v_add_lshl_u32 v48, v3, v4, 0x2                   // scaleToBpe: accumulate d0 lower and *= bpe into Cin addr
v_cndmask_b32 v48, -1, v48, s[58:59]               // LDD clip if OOB. offset
/* (d1,vc1,d0,vc0)=(0,1,2,2) */
s_mov_b32 s54, 66                                  // coordOffset0 d0=2 vc0=2
_v_add_co_u32 v4, vcc, v0, s54                     // coord0.2: coord0 += d0*sg0*VW + vc0
	;; [unrolled: 8-line block ×3, first 2 shown]
v_cmp_lt_u32 s[54:55], v4, s[sgprSizeI]            // coord0 < size0
v_cmp_lt_u32 s[58:59], v1, s[sgprSizeJ]            // coord1 < size1
s_and_b64 s[58:59], s[54:55], s[58:59]             // in0 && in1
_v_add_lshl_u32 v52, v3, v4, 0x2                   // scaleToBpe: accumulate d0 lower and *= bpe into Cin addr
v_cndmask_b32 v52, -1, v52, s[58:59]               // LDD clip if OOB. offset
/* (d1,vc1,d0,vc0)=(1,0,0,0) */
_v_add_co_u32 v1, vcc, v1, 63                      // coord1.1: coord1Vgpr += d1*sg1*VW + vc1

/* Fix for UseInitialStridesCD, emitAddressSetupCode */
s_mul_i32 s54, s[sgprStrideC1J], 63                // scale stride
_v_add_u32 v2, v2, s54                             // ROWINC- Move cinRowPtr to next row
s_mul_i32 s54, s[sgprStrideD1J], 63                // scale stride
_v_add_u32 v3, v3, s54                             // Move coutRowPtr to next row
v_cmp_lt_u32 s[54:55], v0, s[sgprSizeI]            // coord0 < size0
v_cmp_lt_u32 s[58:59], v1, s[sgprSizeJ]            // coord1 < size1
s_and_b64 s[58:59], s[54:55], s[58:59]             // in0 && in1
_v_add_lshl_u32 v54, v3, v0, 0x2                   // scaleToBpe: accumulate d0 lower and *= bpe into Cin addr
v_cndmask_b32 v54, -1, v54, s[58:59]               // LDD clip if OOB. offset
/* (d1,vc1,d0,vc0)=(1,0,0,1) */
_v_add_co_u32 v4, vcc, v0, 1                       // coord0.1: coord0 += d0*sg0*VW + vc0
v_cmp_lt_u32 s[54:55], v4, s[sgprSizeI]            // coord0 < size0
v_cmp_lt_u32 s[58:59], v1, s[sgprSizeJ]            // coord1 < size1
s_and_b64 s[58:59], s[54:55], s[58:59]             // in0 && in1
_v_add_lshl_u32 v56, v3, v4, 0x2                   // scaleToBpe: accumulate d0 lower and *= bpe into Cin addr
v_cndmask_b32 v56, -1, v56, s[58:59]               // LDD clip if OOB. offset
/* (d1,vc1,d0,vc0)=(1,0,0,2) */
_v_add_co_u32 v4, vcc, v0, 2                       // coord0.1: coord0 += d0*sg0*VW + vc0
	;; [unrolled: 7-line block ×3, first 2 shown]
v_cmp_lt_u32 s[54:55], v4, s[sgprSizeI]            // coord0 < size0
v_cmp_lt_u32 s[58:59], v1, s[sgprSizeJ]            // coord1 < size1
s_and_b64 s[58:59], s[54:55], s[58:59]             // in0 && in1
_v_add_lshl_u32 v60, v3, v4, 0x2                   // scaleToBpe: accumulate d0 lower and *= bpe into Cin addr
v_cndmask_b32 v60, -1, v60, s[58:59]               // LDD clip if OOB. offset
/* (d1,vc1,d0,vc0)=(1,0,1,0) */
_v_add_co_u32 v4, vcc, v0, 32                      // coord0.1: coord0 += d0*sg0*VW + vc0
v_cmp_lt_u32 s[54:55], v4, s[sgprSizeI]            // coord0 < size0
v_cmp_lt_u32 s[58:59], v1, s[sgprSizeJ]            // coord1 < size1
s_and_b64 s[58:59], s[54:55], s[58:59]             // in0 && in1
_v_add_lshl_u32 v62, v3, v4, 0x2                   // scaleToBpe: accumulate d0 lower and *= bpe into Cin addr
v_cndmask_b32 v62, -1, v62, s[58:59]               // LDD clip if OOB. offset
/* (d1,vc1,d0,vc0)=(1,0,1,1) */
_v_add_co_u32 v4, vcc, v0, 33                      // coord0.1: coord0 += d0*sg0*VW + vc0
	;; [unrolled: 7-line block ×5, first 2 shown]
v_cmp_lt_u32 s[54:55], v4, s[sgprSizeI]            // coord0 < size0
v_cmp_lt_u32 s[58:59], v1, s[sgprSizeJ]            // coord1 < size1
s_and_b64 s[58:59], s[54:55], s[58:59]             // in0 && in1
_v_add_lshl_u32 v70, v3, v4, 0x2                   // scaleToBpe: accumulate d0 lower and *= bpe into Cin addr
v_cndmask_b32 v70, -1, v70, s[58:59]               // LDD clip if OOB. offset
/* (d1,vc1,d0,vc0)=(1,0,2,1) */
s_mov_b32 s54, 65                                  // coordOffset0 d0=2 vc0=1
_v_add_co_u32 v4, vcc, v0, s54                     // coord0.2: coord0 += d0*sg0*VW + vc0
v_cmp_lt_u32 s[54:55], v4, s[sgprSizeI]            // coord0 < size0
v_cmp_lt_u32 s[58:59], v1, s[sgprSizeJ]            // coord1 < size1
s_and_b64 s[58:59], s[54:55], s[58:59]             // in0 && in1
_v_add_lshl_u32 v72, v3, v4, 0x2                   // scaleToBpe: accumulate d0 lower and *= bpe into Cin addr
v_cndmask_b32 v72, -1, v72, s[58:59]               // LDD clip if OOB. offset
/* (d1,vc1,d0,vc0)=(1,0,2,2) */
s_mov_b32 s54, 66                                  // coordOffset0 d0=2 vc0=2
_v_add_co_u32 v4, vcc, v0, s54                     // coord0.2: coord0 += d0*sg0*VW + vc0
v_cmp_lt_u32 s[54:55], v4, s[sgprSizeI]            // coord0 < size0
v_cmp_lt_u32 s[58:59], v1, s[sgprSizeJ]            // coord1 < size1
s_and_b64 s[58:59], s[54:55], s[58:59]             // in0 && in1
_v_add_lshl_u32 v74, v3, v4, 0x2                   // scaleToBpe: accumulate d0 lower and *= bpe into Cin addr
v_cndmask_b32 v74, -1, v74, s[58:59]               // LDD clip if OOB. offset
/* (d1,vc1,d0,vc0)=(1,0,2,3) */
s_mov_b32 s54, 67                                  // coordOffset0 d0=2 vc0=3
_v_add_co_u32 v4, vcc, v0, s54                     // coord0.2: coord0 += d0*sg0*VW + vc0
v_cmp_lt_u32 s[54:55], v4, s[sgprSizeI]            // coord0 < size0
v_cmp_lt_u32 s[58:59], v1, s[sgprSizeJ]            // coord1 < size1
s_and_b64 s[58:59], s[54:55], s[58:59]             // in0 && in1
_v_add_lshl_u32 v76, v3, v4, 0x2                   // scaleToBpe: accumulate d0 lower and *= bpe into Cin addr
v_cndmask_b32 v76, -1, v76, s[58:59]               // LDD clip if OOB. offset
/* (d1,vc1,d0,vc0)=(1,1,0,0) */
_v_add_co_u32 v1, vcc, v1, 1                       // coord1.1: coord1Vgpr += d1*sg1*VW + vc1

/* Fix for UseInitialStridesCD, emitAddressSetupCode */
_v_add_u32 v2, v2, s[sgprStrideC1J]                // ROWINC- Move cinRowPtr to next row
_v_add_u32 v3, v3, s[sgprStrideD1J]                // Move coutRowPtr to next row
v_cmp_lt_u32 s[54:55], v0, s[sgprSizeI]            // coord0 < size0
v_cmp_lt_u32 s[58:59], v1, s[sgprSizeJ]            // coord1 < size1
s_and_b64 s[58:59], s[54:55], s[58:59]             // in0 && in1
_v_add_lshl_u32 v78, v3, v0, 0x2                   // scaleToBpe: accumulate d0 lower and *= bpe into Cin addr
v_cndmask_b32 v78, -1, v78, s[58:59]               // LDD clip if OOB. offset
/* (d1,vc1,d0,vc0)=(1,1,0,1) */
_v_add_co_u32 v4, vcc, v0, 1                       // coord0.1: coord0 += d0*sg0*VW + vc0
v_cmp_lt_u32 s[54:55], v4, s[sgprSizeI]            // coord0 < size0
v_cmp_lt_u32 s[58:59], v1, s[sgprSizeJ]            // coord1 < size1
s_and_b64 s[58:59], s[54:55], s[58:59]             // in0 && in1
_v_add_lshl_u32 v80, v3, v4, 0x2                   // scaleToBpe: accumulate d0 lower and *= bpe into Cin addr
v_cndmask_b32 v80, -1, v80, s[58:59]               // LDD clip if OOB. offset
/* (d1,vc1,d0,vc0)=(1,1,0,2) */
_v_add_co_u32 v4, vcc, v0, 2                       // coord0.1: coord0 += d0*sg0*VW + vc0
	;; [unrolled: 7-line block ×3, first 2 shown]
v_cmp_lt_u32 s[54:55], v4, s[sgprSizeI]            // coord0 < size0
v_cmp_lt_u32 s[58:59], v1, s[sgprSizeJ]            // coord1 < size1
s_and_b64 s[58:59], s[54:55], s[58:59]             // in0 && in1
_v_add_lshl_u32 v84, v3, v4, 0x2                   // scaleToBpe: accumulate d0 lower and *= bpe into Cin addr
v_cndmask_b32 v84, -1, v84, s[58:59]               // LDD clip if OOB. offset
/* (d1,vc1,d0,vc0)=(1,1,1,0) */
_v_add_co_u32 v4, vcc, v0, 32                      // coord0.1: coord0 += d0*sg0*VW + vc0
v_cmp_lt_u32 s[54:55], v4, s[sgprSizeI]            // coord0 < size0
v_cmp_lt_u32 s[58:59], v1, s[sgprSizeJ]            // coord1 < size1
s_and_b64 s[58:59], s[54:55], s[58:59]             // in0 && in1
_v_add_lshl_u32 v86, v3, v4, 0x2                   // scaleToBpe: accumulate d0 lower and *= bpe into Cin addr
v_cndmask_b32 v86, -1, v86, s[58:59]               // LDD clip if OOB. offset
/* (d1,vc1,d0,vc0)=(1,1,1,1) */
_v_add_co_u32 v4, vcc, v0, 33                      // coord0.1: coord0 += d0*sg0*VW + vc0
	;; [unrolled: 7-line block ×5, first 2 shown]
v_cmp_lt_u32 s[54:55], v4, s[sgprSizeI]            // coord0 < size0
v_cmp_lt_u32 s[58:59], v1, s[sgprSizeJ]            // coord1 < size1
s_and_b64 s[58:59], s[54:55], s[58:59]             // in0 && in1
_v_add_lshl_u32 v97, v3, v4, 0x2                   // scaleToBpe: accumulate d0 lower and *= bpe into Cin addr
v_cndmask_b32 v97, -1, v97, s[58:59]               // LDD clip if OOB. offset
/* (d1,vc1,d0,vc0)=(1,1,2,1) */
s_mov_b32 s54, 65                                  // coordOffset0 d0=2 vc0=1
_v_add_co_u32 v4, vcc, v0, s54                     // coord0.2: coord0 += d0*sg0*VW + vc0
v_cmp_lt_u32 s[54:55], v4, s[sgprSizeI]            // coord0 < size0
v_cmp_lt_u32 s[58:59], v1, s[sgprSizeJ]            // coord1 < size1
s_and_b64 s[58:59], s[54:55], s[58:59]             // in0 && in1
_v_add_lshl_u32 v99, v3, v4, 0x2                   // scaleToBpe: accumulate d0 lower and *= bpe into Cin addr
v_cndmask_b32 v99, -1, v99, s[58:59]               // LDD clip if OOB. offset
/* (d1,vc1,d0,vc0)=(1,1,2,2) */
s_mov_b32 s54, 66                                  // coordOffset0 d0=2 vc0=2
_v_add_co_u32 v4, vcc, v0, s54                     // coord0.2: coord0 += d0*sg0*VW + vc0
v_cmp_lt_u32 s[54:55], v4, s[sgprSizeI]            // coord0 < size0
v_cmp_lt_u32 s[58:59], v1, s[sgprSizeJ]            // coord1 < size1
s_and_b64 s[58:59], s[54:55], s[58:59]             // in0 && in1
_v_add_lshl_u32 v101, v3, v4, 0x2                  // scaleToBpe: accumulate d0 lower and *= bpe into Cin addr
v_cndmask_b32 v101, -1, v101, s[58:59]             // LDD clip if OOB. offset
/* (d1,vc1,d0,vc0)=(1,1,2,3) */
s_mov_b32 s54, 67                                  // coordOffset0 d0=2 vc0=3
_v_add_co_u32 v4, vcc, v0, s54                     // coord0.2: coord0 += d0*sg0*VW + vc0
v_cmp_lt_u32 s[54:55], v4, s[sgprSizeI]            // coord0 < size0
v_cmp_lt_u32 s[58:59], v1, s[sgprSizeJ]            // coord1 < size1
s_and_b64 s[58:59], s[54:55], s[58:59]             // in0 && in1
_v_add_lshl_u32 v103, v3, v4, 0x2                  // scaleToBpe: accumulate d0 lower and *= bpe into Cin addr
v_cndmask_b32 v103, -1, v103, s[58:59]             // LDD clip if OOB. offset
v_accvgpr_read_b32 v[vgprValuC+7], acc0 // copy acc to vreg[0]
v_accvgpr_read_b32 v[vgprValuC+9], acc1 // copy acc to vreg[1]
v_accvgpr_read_b32 v[vgprValuC+11], acc2 // copy acc to vreg[2]
v_accvgpr_read_b32 v[vgprValuC+13], acc3 // copy acc to vreg[3]
v_accvgpr_read_b32 v[vgprValuC+15], acc4 // copy acc to vreg[4]
v_accvgpr_read_b32 v[vgprValuC+17], acc5 // copy acc to vreg[5]
v_accvgpr_read_b32 v[vgprValuC+19], acc6 // copy acc to vreg[6]
v_accvgpr_read_b32 v[vgprValuC+21], acc7 // copy acc to vreg[7]
v_accvgpr_read_b32 v[vgprValuC+23], acc8 // copy acc to vreg[8]
v_accvgpr_read_b32 v[vgprValuC+25], acc9 // copy acc to vreg[9]
v_accvgpr_read_b32 v[vgprValuC+27], acc10 // copy acc to vreg[10]
v_accvgpr_read_b32 v[vgprValuC+29], acc11 // copy acc to vreg[11]
v_accvgpr_read_b32 v[vgprValuC+31], acc12 // copy acc to vreg[12]
v_accvgpr_read_b32 v[vgprValuC+33], acc13 // copy acc to vreg[13]
v_accvgpr_read_b32 v[vgprValuC+35], acc14 // copy acc to vreg[14]
v_accvgpr_read_b32 v[vgprValuC+37], acc15 // copy acc to vreg[15]
v_accvgpr_read_b32 v[vgprValuC+39], acc16 // copy acc to vreg[16]
v_accvgpr_read_b32 v[vgprValuC+41], acc17 // copy acc to vreg[17]
v_accvgpr_read_b32 v[vgprValuC+43], acc18 // copy acc to vreg[18]
v_accvgpr_read_b32 v[vgprValuC+45], acc19 // copy acc to vreg[19]
v_accvgpr_read_b32 v[vgprValuC+47], acc20 // copy acc to vreg[20]
v_accvgpr_read_b32 v[vgprValuC+49], acc21 // copy acc to vreg[21]
v_accvgpr_read_b32 v[vgprValuC+51], acc22 // copy acc to vreg[22]
v_accvgpr_read_b32 v[vgprValuC+53], acc23 // copy acc to vreg[23]
v_accvgpr_read_b32 v[vgprValuC+55], acc24 // copy acc to vreg[24]
v_accvgpr_read_b32 v[vgprValuC+57], acc25 // copy acc to vreg[25]
v_accvgpr_read_b32 v[vgprValuC+59], acc26 // copy acc to vreg[26]
v_accvgpr_read_b32 v[vgprValuC+61], acc27 // copy acc to vreg[27]
v_accvgpr_read_b32 v[vgprValuC+63], acc28 // copy acc to vreg[28]
v_accvgpr_read_b32 v[vgprValuC+65], acc29 // copy acc to vreg[29]
v_accvgpr_read_b32 v[vgprValuC+67], acc30 // copy acc to vreg[30]
v_accvgpr_read_b32 v[vgprValuC+69], acc31 // copy acc to vreg[31]
v_accvgpr_read_b32 v[vgprValuC+71], acc32 // copy acc to vreg[32]
v_accvgpr_read_b32 v[vgprValuC+73], acc33 // copy acc to vreg[33]
v_accvgpr_read_b32 v[vgprValuC+75], acc34 // copy acc to vreg[34]
v_accvgpr_read_b32 v[vgprValuC+77], acc35 // copy acc to vreg[35]
v_accvgpr_read_b32 v[vgprValuC+79], acc36 // copy acc to vreg[36]
v_accvgpr_read_b32 v[vgprValuC+81], acc37 // copy acc to vreg[37]
v_accvgpr_read_b32 v[vgprValuC+83], acc38 // copy acc to vreg[38]
v_accvgpr_read_b32 v[vgprValuC+85], acc39 // copy acc to vreg[39]
v_accvgpr_read_b32 v[vgprValuC+87], acc40 // copy acc to vreg[40]
v_accvgpr_read_b32 v[vgprValuC+92], acc41 // copy acc to vreg[41]
v_accvgpr_read_b32 v[vgprValuC+94], acc42 // copy acc to vreg[42]
v_accvgpr_read_b32 v[vgprValuC+96], acc43 // copy acc to vreg[43]
v_accvgpr_read_b32 v[vgprValuC+98], acc44 // copy acc to vreg[44]
v_accvgpr_read_b32 v[vgprValuC+100], acc45 // copy acc to vreg[45]
v_accvgpr_read_b32 v[vgprValuC+102], acc46 // copy acc to vreg[46]
v_accvgpr_read_b32 v[vgprValuC+104], acc47 // copy acc to vreg[47]
s_nop 1                                            // 2 wait states required before reading vgpr

/* rC *= alpha batchElements=[(0, 0, 0, 0), (0, 0, 0, 1), (0, 0, 0, 2), (0, 0, 0, 3), (0, 1, 0, 0), (0, 1, 0, 1), (0, 1, 0, 2), (0, 1, 0, 3), (0, 2, 0, 0), (0, 2, 0, 1), (0, 2, 0, 2), (0, 2, 0, 3), (0, 0, 1, 0), (0, 0, 1, 1), (0, 0, 1, 2), (0, 0, 1, 3), (0, 1, 1, 0), (0, 1, 1, 1), (0, 1, 1, 2), (0, 1, 1, 3), (0, 2, 1, 0), (0, 2, 1, 1), (0, 2, 1, 2), (0, 2, 1, 3), (1, 0, 0, 0), (1, 0, 0, 1), (1, 0, 0, 2), (1, 0, 0, 3), (1, 1, 0, 0), (1, 1, 0, 1), (1, 1, 0, 2), (1, 1, 0, 3), (1, 2, 0, 0), (1, 2, 0, 1), (1, 2, 0, 2), (1, 2, 0, 3), (1, 0, 1, 0), (1, 0, 1, 1), (1, 0, 1, 2), (1, 0, 1, 3), (1, 1, 1, 0), (1, 1, 1, 1), (1, 1, 1, 2), (1, 1, 1, 3), (1, 2, 1, 0), (1, 2, 1, 1), (1, 2, 1, 2), (1, 2, 1, 3)] */
v_mul_f32 v[vgprValuC+7], s[sgprAlpha], v[vgprValuC+7] // *= alpha
v_mul_f32 v[vgprValuC+9], s[sgprAlpha], v[vgprValuC+9] // *= alpha
	;; [unrolled: 1-line block ×48, first 2 shown]

/* apply mask, calc new C and issue writes */
_buffer_store_b32 v7, v6, s[sgprSrdD:sgprSrdD+3], 0, offen, offset:0 // store D
_buffer_store_b32 v9, v8, s[sgprSrdD:sgprSrdD+3], 0, offen, offset:0 // store D
	;; [unrolled: 1-line block ×48, first 2 shown]
s_nop 0                                            // 1 wait state required when next inst writes vgprs held by previous dwordx4 store inst
s_branch label_GW_End_42                           // jump to end
GW_Beta_43:
s_mov_b32 s57, 0x0                                 // STATIC_DIV: divisior=96
s_mul_i32 s56, 0x555, s[sgprSizeI]                 // tmp1 = dividend * magic hi
s_lshl_b64 s[56:57], s[56:57], 0x10                // left shift 16 bits
s_mul_i32 s55, s[sgprSizeI], 0x5556                // tmp0 = dividend * magic lo
s_add_u32 s56, s55, s56                            // add lo
s_addc_u32 s57, s57, 0x0                           // add hi
s_lshr_b64 s[56:57], s[56:57], 0x21                // tmp1 = (dividend * magic) << shift
s_mov_b32 s55, s56                                 // quotient
s_mul_i32 s56, s55, 0x60                           // quotient*divisor
s_sub_u32 s54, s[sgprSizeI], s56                   // rReg = dividend - quotient*divisor
s_add_u32 s55, -0x1, s[sgprNumWorkGroups0]         // 
s_cmp_ge_u32 s[sgprWorkGroup0], s55                // wg0 >= nwg0-1 ?
s_cselect_b32 s54, s54, 0                          // set rMT0
s_cmpk_gt_u32 s54, 0x0                             // rMT0 > 0
s_cbranch_scc1 GW_B1_E1_41                         // jump if edges required
s_and_b32 s54, 127, s[sgprSizeJ]                   // s54 = s[sgprSizeJ] % 128
s_add_u32 s55, -0x1, s[sgprNumWorkGroups1]         // 
s_cmp_ge_u32 s[sgprWorkGroup1], s55                // wg1 >= nwg1-1
s_cselect_b32 s54, s54, 0                          // set rMT1
s_cmpk_gt_u32 s54, 0x0                             // rMT1 > 0
s_cbranch_scc1 GW_B1_E1_41                         // jump if edges required
GW_B1_E0_38:

/* edge=0, allocate 2 sgpr. perBatchTmpS=2 perBatchMaskS=0 perElementMaskS=0 elementsPerBatch=24 */
/* optSingleColVgpr=1 optSharedColVgpr=0 optSGPRUsage=BufferLoad_Mask optSrdIncForRow=1 */

/******************************************/
/* Global Write Alpha Beta Batch #0 (d1,d0,vc1,vc0) = */
/*    (0,0,0,0:vw4); (0,1,0,0:vw4); (0,2,0,0:vw4); (0,0,1,0:vw4); (0,1,1,0:vw4); (0,2,1,0:vw4); (1,0,0,0:vw4); (1,1,0,0:vw4); (1,2,0,0:vw4); (1,0,1,0:vw4); (1,1,1,0:vw4); (1,2,1,0:vw4) */
/******************************************/

/* calc coords, apply mask, and issue loads (if necessary) */
/* (d1,vc1,d0,vc0)=(0,0,0,0) */
_v_add_lshl_u32 v7, v2, v0, 0x2                    // optSingleColVgpr scaleToBpe: sharedAddrVgpr <- cinRowPtr + coord0, scaled by BPE. BSHERE:coord0=0, coord0Vgpr=0
_buffer_load_b128 v[8:11], v7, s[sgprSrdC:sgprSrdC+3], 0, offen offset:0 // load C for beta calc
/* (d1,vc1,d0,vc0)=(0,0,1,0) */
_buffer_load_b128 v[16:19], v7, s[sgprSrdC:sgprSrdC+3], 0, offen offset:128 // load C for beta calc
/* (d1,vc1,d0,vc0)=(0,0,2,0) */
	;; [unrolled: 2-line block ×3, first 2 shown]
s_lshl_b32  s54, s[sgprStrideC1J], 2               // incToNextRow: Scale by BPE
s_add_u32  s[sgprSrdC+0], s[sgprSrdC+0], s54       // incToNextRow: gra SRD += inc(lower)
s_addc_u32  s[sgprSrdC+1], s[sgprSrdC+1], 0        // incToNextRow: gra SRD += inc(upper)
_buffer_load_b128 v[32:35], v7, s[sgprSrdC:sgprSrdC+3], 0, offen offset:0 // load C for beta calc
/* (d1,vc1,d0,vc0)=(0,1,1,0) */
_buffer_load_b128 v[40:43], v7, s[sgprSrdC:sgprSrdC+3], 0, offen offset:128 // load C for beta calc
/* (d1,vc1,d0,vc0)=(0,1,2,0) */
	;; [unrolled: 2-line block ×3, first 2 shown]
s_mul_i32 s54, s[sgprStrideC1J], 252               // scale StrideC *= numRows(63) * bpe
s_add_u32  s[sgprSrdC+0], s[sgprSrdC+0], s54       // incToNextRow: gra SRD += inc(lower)
s_addc_u32  s[sgprSrdC+1], s[sgprSrdC+1], 0        // incToNextRow: gra SRD += inc(upper)
_buffer_load_b128 v[56:59], v7, s[sgprSrdC:sgprSrdC+3], 0, offen offset:0 // load C for beta calc
/* (d1,vc1,d0,vc0)=(1,0,1,0) */
_buffer_load_b128 v[64:67], v7, s[sgprSrdC:sgprSrdC+3], 0, offen offset:128 // load C for beta calc
/* (d1,vc1,d0,vc0)=(1,0,2,0) */
_buffer_load_b128 v[72:75], v7, s[sgprSrdC:sgprSrdC+3], 0, offen offset:256 // load C for beta calc
/* (d1,vc1,d0,vc0)=(1,1,0,0) */
s_lshl_b32  s54, s[sgprStrideC1J], 2               // incToNextRow: Scale by BPE
s_add_u32  s[sgprSrdC+0], s[sgprSrdC+0], s54       // incToNextRow: gra SRD += inc(lower)
s_addc_u32  s[sgprSrdC+1], s[sgprSrdC+1], 0        // incToNextRow: gra SRD += inc(upper)
_buffer_load_b128 v[80:83], v7, s[sgprSrdC:sgprSrdC+3], 0, offen offset:0 // load C for beta calc
/* (d1,vc1,d0,vc0)=(1,1,1,0) */
_buffer_load_b128 v[92:95], v7, s[sgprSrdC:sgprSrdC+3], 0, offen offset:128 // load C for beta calc
/* (d1,vc1,d0,vc0)=(1,1,2,0) */
_buffer_load_b128 v[100:103], v7, s[sgprSrdC:sgprSrdC+3], 0, offen offset:256 // load C for beta calc
_v_add_lshl_u32 v6, v3, v0, 0x2                    // optSingleColVgpr scaleToBpe: sharedAddrVgpr <- cinRowPtr + coord0, scaled by BPE. BSHERE:coord0=0, coord0Vgpr=0
v_accvgpr_read_b32 v[vgprValuC+12], acc0 // copy acc to vreg[0]
v_accvgpr_read_b32 v[vgprValuC+13], acc1 // copy acc to vreg[1]
v_accvgpr_read_b32 v[vgprValuC+14], acc2 // copy acc to vreg[2]
v_accvgpr_read_b32 v[vgprValuC+15], acc3 // copy acc to vreg[3]
v_accvgpr_read_b32 v[vgprValuC+20], acc4 // copy acc to vreg[4]
v_accvgpr_read_b32 v[vgprValuC+21], acc5 // copy acc to vreg[5]
v_accvgpr_read_b32 v[vgprValuC+22], acc6 // copy acc to vreg[6]
v_accvgpr_read_b32 v[vgprValuC+23], acc7 // copy acc to vreg[7]
v_accvgpr_read_b32 v[vgprValuC+28], acc8 // copy acc to vreg[8]
v_accvgpr_read_b32 v[vgprValuC+29], acc9 // copy acc to vreg[9]
v_accvgpr_read_b32 v[vgprValuC+30], acc10 // copy acc to vreg[10]
v_accvgpr_read_b32 v[vgprValuC+31], acc11 // copy acc to vreg[11]
v_accvgpr_read_b32 v[vgprValuC+36], acc12 // copy acc to vreg[12]
v_accvgpr_read_b32 v[vgprValuC+37], acc13 // copy acc to vreg[13]
v_accvgpr_read_b32 v[vgprValuC+38], acc14 // copy acc to vreg[14]
v_accvgpr_read_b32 v[vgprValuC+39], acc15 // copy acc to vreg[15]
v_accvgpr_read_b32 v[vgprValuC+44], acc16 // copy acc to vreg[16]
v_accvgpr_read_b32 v[vgprValuC+45], acc17 // copy acc to vreg[17]
v_accvgpr_read_b32 v[vgprValuC+46], acc18 // copy acc to vreg[18]
v_accvgpr_read_b32 v[vgprValuC+47], acc19 // copy acc to vreg[19]
v_accvgpr_read_b32 v[vgprValuC+52], acc20 // copy acc to vreg[20]
v_accvgpr_read_b32 v[vgprValuC+53], acc21 // copy acc to vreg[21]
v_accvgpr_read_b32 v[vgprValuC+54], acc22 // copy acc to vreg[22]
v_accvgpr_read_b32 v[vgprValuC+55], acc23 // copy acc to vreg[23]
v_accvgpr_read_b32 v[vgprValuC+60], acc24 // copy acc to vreg[24]
v_accvgpr_read_b32 v[vgprValuC+61], acc25 // copy acc to vreg[25]
v_accvgpr_read_b32 v[vgprValuC+62], acc26 // copy acc to vreg[26]
v_accvgpr_read_b32 v[vgprValuC+63], acc27 // copy acc to vreg[27]
v_accvgpr_read_b32 v[vgprValuC+68], acc28 // copy acc to vreg[28]
v_accvgpr_read_b32 v[vgprValuC+69], acc29 // copy acc to vreg[29]
v_accvgpr_read_b32 v[vgprValuC+70], acc30 // copy acc to vreg[30]
v_accvgpr_read_b32 v[vgprValuC+71], acc31 // copy acc to vreg[31]
v_accvgpr_read_b32 v[vgprValuC+76], acc32 // copy acc to vreg[32]
v_accvgpr_read_b32 v[vgprValuC+77], acc33 // copy acc to vreg[33]
v_accvgpr_read_b32 v[vgprValuC+78], acc34 // copy acc to vreg[34]
v_accvgpr_read_b32 v[vgprValuC+79], acc35 // copy acc to vreg[35]
v_accvgpr_read_b32 v[vgprValuC+84], acc36 // copy acc to vreg[36]
v_accvgpr_read_b32 v[vgprValuC+85], acc37 // copy acc to vreg[37]
v_accvgpr_read_b32 v[vgprValuC+86], acc38 // copy acc to vreg[38]
v_accvgpr_read_b32 v[vgprValuC+87], acc39 // copy acc to vreg[39]
v_accvgpr_read_b32 v[vgprValuC+96], acc40 // copy acc to vreg[40]
v_accvgpr_read_b32 v[vgprValuC+97], acc41 // copy acc to vreg[41]
v_accvgpr_read_b32 v[vgprValuC+98], acc42 // copy acc to vreg[42]
v_accvgpr_read_b32 v[vgprValuC+99], acc43 // copy acc to vreg[43]
v_accvgpr_read_b32 v[vgprValuC+104], acc44 // copy acc to vreg[44]
v_accvgpr_read_b32 v[vgprValuC+105], acc45 // copy acc to vreg[45]
v_accvgpr_read_b32 v[vgprValuC+106], acc46 // copy acc to vreg[46]
v_accvgpr_read_b32 v[vgprValuC+107], acc47 // copy acc to vreg[47]
s_nop 1                                            // 2 wait states required before reading vgpr

/* rC *= alpha batchElements=[(0, 0, 0, 0), (0, 1, 0, 0), (0, 2, 0, 0), (0, 0, 1, 0), (0, 1, 1, 0), (0, 2, 1, 0), (1, 0, 0, 0), (1, 1, 0, 0), (1, 2, 0, 0), (1, 0, 1, 0), (1, 1, 1, 0), (1, 2, 1, 0)] */
v_mul_f32 v[vgprValuC+12], s[sgprAlpha], v[vgprValuC+12] // *= alpha
v_mul_f32 v[vgprValuC+13], s[sgprAlpha], v[vgprValuC+13] // *= alpha
	;; [unrolled: 1-line block ×48, first 2 shown]

/* apply mask, calc new C and issue writes */

s_waitcnt vmcnt(11)                                // wait C (interleaved) 11 = 12 - 0 + 0 - 1
_v_mac_f32 v[vgprValuC+12], v8, s[sgprBeta]        // finalSum = sum*alpha + C*beta
_v_mac_f32 v[vgprValuC+13], v9, s[sgprBeta]        // finalSum = sum*alpha + C*beta
_v_mac_f32 v[vgprValuC+14], v10, s[sgprBeta]       // finalSum = sum*alpha + C*beta
_v_mac_f32 v[vgprValuC+15], v11, s[sgprBeta]       // finalSum = sum*alpha + C*beta
_buffer_store_b128 v[12:15], v6, s[sgprSrdD:sgprSrdD+3], 0, offen, offset:0 // store D

s_waitcnt vmcnt(11)                                // wait C (interleaved) 11 = 12 - 1 + 1 - 1
_v_mac_f32 v[vgprValuC+20], v16, s[sgprBeta]       // finalSum = sum*alpha + C*beta
_v_mac_f32 v[vgprValuC+21], v17, s[sgprBeta]       // finalSum = sum*alpha + C*beta
_v_mac_f32 v[vgprValuC+22], v18, s[sgprBeta]       // finalSum = sum*alpha + C*beta
_v_mac_f32 v[vgprValuC+23], v19, s[sgprBeta]       // finalSum = sum*alpha + C*beta
_buffer_store_b128 v[20:23], v6, s[sgprSrdD:sgprSrdD+3], 0, offen, offset:128 // store D

s_waitcnt vmcnt(11)                                // wait C (interleaved) 11 = 12 - 2 + 2 - 1
_v_mac_f32 v[vgprValuC+28], v24, s[sgprBeta]       // finalSum = sum*alpha + C*beta
_v_mac_f32 v[vgprValuC+29], v25, s[sgprBeta]       // finalSum = sum*alpha + C*beta
	;; [unrolled: 7-line block ×3, first 2 shown]
_v_mac_f32 v[vgprValuC+38], v34, s[sgprBeta]       // finalSum = sum*alpha + C*beta
_v_mac_f32 v[vgprValuC+39], v35, s[sgprBeta]       // finalSum = sum*alpha + C*beta
s_lshl_b32  s54, s[sgprStrideD1J], 2               // incToNextRow: Scale by BPE
s_add_u32  s[sgprSrdD+0], s[sgprSrdD+0], s54       // incToNextRow: gra SRD += inc(lower)
s_addc_u32  s[sgprSrdD+1], s[sgprSrdD+1], 0        // incToNextRow: gra SRD += inc(upper)
_buffer_store_b128 v[36:39], v6, s[sgprSrdD:sgprSrdD+3], 0, offen, offset:0 // store D

s_waitcnt vmcnt(11)                                // wait C (interleaved) 11 = 12 - 4 + 4 - 1
_v_mac_f32 v[vgprValuC+44], v40, s[sgprBeta]       // finalSum = sum*alpha + C*beta
_v_mac_f32 v[vgprValuC+45], v41, s[sgprBeta]       // finalSum = sum*alpha + C*beta
_v_mac_f32 v[vgprValuC+46], v42, s[sgprBeta]       // finalSum = sum*alpha + C*beta
_v_mac_f32 v[vgprValuC+47], v43, s[sgprBeta]       // finalSum = sum*alpha + C*beta
_buffer_store_b128 v[44:47], v6, s[sgprSrdD:sgprSrdD+3], 0, offen, offset:128 // store D

s_waitcnt vmcnt(11)                                // wait C (interleaved) 11 = 12 - 5 + 5 - 1
_v_mac_f32 v[vgprValuC+52], v48, s[sgprBeta]       // finalSum = sum*alpha + C*beta
_v_mac_f32 v[vgprValuC+53], v49, s[sgprBeta]       // finalSum = sum*alpha + C*beta
_v_mac_f32 v[vgprValuC+54], v50, s[sgprBeta]       // finalSum = sum*alpha + C*beta
_v_mac_f32 v[vgprValuC+55], v51, s[sgprBeta]       // finalSum = sum*alpha + C*beta
	;; [unrolled: 7-line block ×3, first 2 shown]
s_mul_i32 s54, s[sgprStrideD1J], 252               // scale StrideD *= numRows(63) * bpe
s_add_u32  s[sgprSrdD+0], s[sgprSrdD+0], s54       // incToNextRow: gra SRD += inc(lower)
s_addc_u32  s[sgprSrdD+1], s[sgprSrdD+1], 0        // incToNextRow: gra SRD += inc(upper)
_buffer_store_b128 v[60:63], v6, s[sgprSrdD:sgprSrdD+3], 0, offen, offset:0 // store D

s_waitcnt vmcnt(11)                                // wait C (interleaved) 11 = 12 - 7 + 7 - 1
_v_mac_f32 v[vgprValuC+68], v64, s[sgprBeta]       // finalSum = sum*alpha + C*beta
_v_mac_f32 v[vgprValuC+69], v65, s[sgprBeta]       // finalSum = sum*alpha + C*beta
_v_mac_f32 v[vgprValuC+70], v66, s[sgprBeta]       // finalSum = sum*alpha + C*beta
_v_mac_f32 v[vgprValuC+71], v67, s[sgprBeta]       // finalSum = sum*alpha + C*beta
_buffer_store_b128 v[68:71], v6, s[sgprSrdD:sgprSrdD+3], 0, offen, offset:128 // store D

s_waitcnt vmcnt(11)                                // wait C (interleaved) 11 = 12 - 8 + 8 - 1
_v_mac_f32 v[vgprValuC+76], v72, s[sgprBeta]       // finalSum = sum*alpha + C*beta
_v_mac_f32 v[vgprValuC+77], v73, s[sgprBeta]       // finalSum = sum*alpha + C*beta
_v_mac_f32 v[vgprValuC+78], v74, s[sgprBeta]       // finalSum = sum*alpha + C*beta
_v_mac_f32 v[vgprValuC+79], v75, s[sgprBeta]       // finalSum = sum*alpha + C*beta
	;; [unrolled: 7-line block ×3, first 2 shown]
s_lshl_b32  s54, s[sgprStrideD1J], 2               // incToNextRow: Scale by BPE
s_add_u32  s[sgprSrdD+0], s[sgprSrdD+0], s54       // incToNextRow: gra SRD += inc(lower)
s_addc_u32  s[sgprSrdD+1], s[sgprSrdD+1], 0        // incToNextRow: gra SRD += inc(upper)
_buffer_store_b128 v[84:87], v6, s[sgprSrdD:sgprSrdD+3], 0, offen, offset:0 // store D

s_waitcnt vmcnt(11)                                // wait C (interleaved) 11 = 12 - 10 + 10 - 1
_v_mac_f32 v[vgprValuC+96], v92, s[sgprBeta]       // finalSum = sum*alpha + C*beta
_v_mac_f32 v[vgprValuC+97], v93, s[sgprBeta]       // finalSum = sum*alpha + C*beta
	;; [unrolled: 1-line block ×4, first 2 shown]
_buffer_store_b128 v[96:99], v6, s[sgprSrdD:sgprSrdD+3], 0, offen, offset:128 // store D

s_waitcnt vmcnt(11)                                // wait C (interleaved) 11 = 12 - 11 + 11 - 1
_v_mac_f32 v[vgprValuC+104], v100, s[sgprBeta]     // finalSum = sum*alpha + C*beta
_v_mac_f32 v[vgprValuC+105], v101, s[sgprBeta]     // finalSum = sum*alpha + C*beta
	;; [unrolled: 1-line block ×4, first 2 shown]
_buffer_store_b128 v[104:107], v6, s[sgprSrdD:sgprSrdD+3], 0, offen, offset:256 // store D
s_nop 0                                            // 1 wait state required when next inst writes vgprs held by previous dwordx4 store inst
s_branch label_GW_End_42                           // jump to end
GW_B1_E1_41:

/* edge=1, allocate 6 sgpr. perBatchTmpS=4 perBatchMaskS=2 perElementMaskS=0 elementsPerBatch=66 */
/* optSingleColVgpr=0 optSharedColVgpr=0 optSGPRUsage=BufferLoad_Edge_Mask optSrdIncForRow=0 */

/******************************************/
/* Global Write Alpha Beta Edge Batch #0 (d1,d0,vc1,vc0) = */
/*    (0,0,0,0:vw1); (0,0,0,1:vw1); (0,0,0,2:vw1); (0,0,0,3:vw1); (0,1,0,0:vw1); (0,1,0,1:vw1); (0,1,0,2:vw1); (0,1,0,3:vw1); (0,2,0,0:vw1); (0,2,0,1:vw1); (0,2,0,2:vw1); (0,2,0,3:vw1); (0,0,1,0:vw1); (0,0,1,1:vw1); (0,0,1,2:vw1); (0,0,1,3:vw1); (0,1,1,0:vw1); (0,1,1,1:vw1); (0,1,1,2:vw1); (0,1,1,3:vw1); (0,2,1,0:vw1); (0,2,1,1:vw1); (0,2,1,2:vw1); (0,2,1,3:vw1); (1,0,0,0:vw1); (1,0,0,1:vw1); (1,0,0,2:vw1); (1,0,0,3:vw1); (1,1,0,0:vw1); (1,1,0,1:vw1); (1,1,0,2:vw1); (1,1,0,3:vw1); (1,2,0,0:vw1); (1,2,0,1:vw1); (1,2,0,2:vw1); (1,2,0,3:vw1); (1,0,1,0:vw1); (1,0,1,1:vw1); (1,0,1,2:vw1); (1,0,1,3:vw1); (1,1,1,0:vw1); (1,1,1,1:vw1); (1,1,1,2:vw1); (1,1,1,3:vw1); (1,2,1,0:vw1); (1,2,1,1:vw1); (1,2,1,2:vw1); (1,2,1,3:vw1) */
/******************************************/

/* calc coords, apply mask, and issue loads (if necessary) */
/* (d1,vc1,d0,vc0)=(0,0,0,0) */
v_cmp_lt_u32 s[54:55], v0, s[sgprSizeI]            // coord0 < size0
v_cmp_lt_u32 s[58:59], v1, s[sgprSizeJ]            // coord1 < size1
s_and_b64 s[58:59], s[54:55], s[58:59]             // in0 && in1
_v_add_lshl_u32 v6, v2, v0, 0x2                    // scaleToBpe: accumulate d0 lower and *= bpe into Cin addr
v_cndmask_b32 v6, -1, v6, s[58:59]                 // LDC clip if OOB. offset
_buffer_load_b32 v7, v6, s[sgprSrdC:sgprSrdC+3], 0, offen offset:0 // load C for beta calc
_v_add_lshl_u32 v6, v3, v0, 0x2                    // scaleToBpe: accumulate d0 lower and *= bpe into Cin addr
v_cndmask_b32 v6, -1, v6, s[58:59]                 // LDD clip if OOB. offset
/* (d1,vc1,d0,vc0)=(0,0,0,1) */
_v_add_co_u32 v4, vcc, v0, 1                       // coord0.1: coord0 += d0*sg0*VW + vc0
v_cmp_lt_u32 s[54:55], v4, s[sgprSizeI]            // coord0 < size0
v_cmp_lt_u32 s[58:59], v1, s[sgprSizeJ]            // coord1 < size1
s_and_b64 s[58:59], s[54:55], s[58:59]             // in0 && in1
_v_add_lshl_u32 v9, v2, v4, 0x2                    // scaleToBpe: accumulate d0 lower and *= bpe into Cin addr
v_cndmask_b32 v9, -1, v9, s[58:59]                 // LDC clip if OOB. offset
_buffer_load_b32 v10, v9, s[sgprSrdC:sgprSrdC+3], 0, offen offset:0 // load C for beta calc
_v_add_lshl_u32 v9, v3, v4, 0x2                    // scaleToBpe: accumulate d0 lower and *= bpe into Cin addr
v_cndmask_b32 v9, -1, v9, s[58:59]                 // LDD clip if OOB. offset
/* (d1,vc1,d0,vc0)=(0,0,0,2) */
_v_add_co_u32 v4, vcc, v0, 2                       // coord0.1: coord0 += d0*sg0*VW + vc0
v_cmp_lt_u32 s[54:55], v4, s[sgprSizeI]            // coord0 < size0
v_cmp_lt_u32 s[58:59], v1, s[sgprSizeJ]            // coord1 < size1
s_and_b64 s[58:59], s[54:55], s[58:59]             // in0 && in1
_v_add_lshl_u32 v12, v2, v4, 0x2                   // scaleToBpe: accumulate d0 lower and *= bpe into Cin addr
v_cndmask_b32 v12, -1, v12, s[58:59]               // LDC clip if OOB. offset
_buffer_load_b32 v13, v12, s[sgprSrdC:sgprSrdC+3], 0, offen offset:0 // load C for beta calc
_v_add_lshl_u32 v12, v3, v4, 0x2                   // scaleToBpe: accumulate d0 lower and *= bpe into Cin addr
v_cndmask_b32 v12, -1, v12, s[58:59]               // LDD clip if OOB. offset
/* (d1,vc1,d0,vc0)=(0,0,0,3) */
_v_add_co_u32 v4, vcc, v0, 3                       // coord0.1: coord0 += d0*sg0*VW + vc0
v_cmp_lt_u32 s[54:55], v4, s[sgprSizeI]            // coord0 < size0
v_cmp_lt_u32 s[58:59], v1, s[sgprSizeJ]            // coord1 < size1
s_and_b64 s[58:59], s[54:55], s[58:59]             // in0 && in1
_v_add_lshl_u32 v15, v2, v4, 0x2                   // scaleToBpe: accumulate d0 lower and *= bpe into Cin addr
v_cndmask_b32 v15, -1, v15, s[58:59]               // LDC clip if OOB. offset
_buffer_load_b32 v16, v15, s[sgprSrdC:sgprSrdC+3], 0, offen offset:0 // load C for beta calc
_v_add_lshl_u32 v15, v3, v4, 0x2                   // scaleToBpe: accumulate d0 lower and *= bpe into Cin addr
v_cndmask_b32 v15, -1, v15, s[58:59]               // LDD clip if OOB. offset
/* (d1,vc1,d0,vc0)=(0,0,1,0) */
_v_add_co_u32 v4, vcc, v0, 32                      // coord0.1: coord0 += d0*sg0*VW + vc0
v_cmp_lt_u32 s[54:55], v4, s[sgprSizeI]            // coord0 < size0
v_cmp_lt_u32 s[58:59], v1, s[sgprSizeJ]            // coord1 < size1
s_and_b64 s[58:59], s[54:55], s[58:59]             // in0 && in1
_v_add_lshl_u32 v18, v2, v4, 0x2                   // scaleToBpe: accumulate d0 lower and *= bpe into Cin addr
v_cndmask_b32 v18, -1, v18, s[58:59]               // LDC clip if OOB. offset
_buffer_load_b32 v19, v18, s[sgprSrdC:sgprSrdC+3], 0, offen offset:0 // load C for beta calc
_v_add_lshl_u32 v18, v3, v4, 0x2                   // scaleToBpe: accumulate d0 lower and *= bpe into Cin addr
v_cndmask_b32 v18, -1, v18, s[58:59]               // LDD clip if OOB. offset
/* (d1,vc1,d0,vc0)=(0,0,1,1) */
_v_add_co_u32 v4, vcc, v0, 33                      // coord0.1: coord0 += d0*sg0*VW + vc0
v_cmp_lt_u32 s[54:55], v4, s[sgprSizeI]            // coord0 < size0
v_cmp_lt_u32 s[58:59], v1, s[sgprSizeJ]            // coord1 < size1
s_and_b64 s[58:59], s[54:55], s[58:59]             // in0 && in1
_v_add_lshl_u32 v21, v2, v4, 0x2                   // scaleToBpe: accumulate d0 lower and *= bpe into Cin addr
v_cndmask_b32 v21, -1, v21, s[58:59]               // LDC clip if OOB. offset
_buffer_load_b32 v22, v21, s[sgprSrdC:sgprSrdC+3], 0, offen offset:0 // load C for beta calc
_v_add_lshl_u32 v21, v3, v4, 0x2                   // scaleToBpe: accumulate d0 lower and *= bpe into Cin addr
v_cndmask_b32 v21, -1, v21, s[58:59]               // LDD clip if OOB. offset
/* (d1,vc1,d0,vc0)=(0,0,1,2) */
_v_add_co_u32 v4, vcc, v0, 34                      // coord0.1: coord0 += d0*sg0*VW + vc0
v_cmp_lt_u32 s[54:55], v4, s[sgprSizeI]            // coord0 < size0
v_cmp_lt_u32 s[58:59], v1, s[sgprSizeJ]            // coord1 < size1
s_and_b64 s[58:59], s[54:55], s[58:59]             // in0 && in1
_v_add_lshl_u32 v24, v2, v4, 0x2                   // scaleToBpe: accumulate d0 lower and *= bpe into Cin addr
v_cndmask_b32 v24, -1, v24, s[58:59]               // LDC clip if OOB. offset
_buffer_load_b32 v25, v24, s[sgprSrdC:sgprSrdC+3], 0, offen offset:0 // load C for beta calc
_v_add_lshl_u32 v24, v3, v4, 0x2                   // scaleToBpe: accumulate d0 lower and *= bpe into Cin addr
v_cndmask_b32 v24, -1, v24, s[58:59]               // LDD clip if OOB. offset
/* (d1,vc1,d0,vc0)=(0,0,1,3) */
_v_add_co_u32 v4, vcc, v0, 35                      // coord0.1: coord0 += d0*sg0*VW + vc0
v_cmp_lt_u32 s[54:55], v4, s[sgprSizeI]            // coord0 < size0
v_cmp_lt_u32 s[58:59], v1, s[sgprSizeJ]            // coord1 < size1
s_and_b64 s[58:59], s[54:55], s[58:59]             // in0 && in1
_v_add_lshl_u32 v27, v2, v4, 0x2                   // scaleToBpe: accumulate d0 lower and *= bpe into Cin addr
v_cndmask_b32 v27, -1, v27, s[58:59]               // LDC clip if OOB. offset
_buffer_load_b32 v28, v27, s[sgprSrdC:sgprSrdC+3], 0, offen offset:0 // load C for beta calc
_v_add_lshl_u32 v27, v3, v4, 0x2                   // scaleToBpe: accumulate d0 lower and *= bpe into Cin addr
v_cndmask_b32 v27, -1, v27, s[58:59]               // LDD clip if OOB. offset
/* (d1,vc1,d0,vc0)=(0,0,2,0) */
_v_add_co_u32 v4, vcc, v0, 64                      // coord0.1: coord0 += d0*sg0*VW + vc0
v_cmp_lt_u32 s[54:55], v4, s[sgprSizeI]            // coord0 < size0
v_cmp_lt_u32 s[58:59], v1, s[sgprSizeJ]            // coord1 < size1
s_and_b64 s[58:59], s[54:55], s[58:59]             // in0 && in1
_v_add_lshl_u32 v30, v2, v4, 0x2                   // scaleToBpe: accumulate d0 lower and *= bpe into Cin addr
v_cndmask_b32 v30, -1, v30, s[58:59]               // LDC clip if OOB. offset
_buffer_load_b32 v31, v30, s[sgprSrdC:sgprSrdC+3], 0, offen offset:0 // load C for beta calc
_v_add_lshl_u32 v30, v3, v4, 0x2                   // scaleToBpe: accumulate d0 lower and *= bpe into Cin addr
v_cndmask_b32 v30, -1, v30, s[58:59]               // LDD clip if OOB. offset
/* (d1,vc1,d0,vc0)=(0,0,2,1) */
s_mov_b32 s54, 65                                  // coordOffset0 d0=2 vc0=1
_v_add_co_u32 v4, vcc, v0, s54                     // coord0.2: coord0 += d0*sg0*VW + vc0
v_cmp_lt_u32 s[54:55], v4, s[sgprSizeI]            // coord0 < size0
v_cmp_lt_u32 s[58:59], v1, s[sgprSizeJ]            // coord1 < size1
s_and_b64 s[58:59], s[54:55], s[58:59]             // in0 && in1
_v_add_lshl_u32 v33, v2, v4, 0x2                   // scaleToBpe: accumulate d0 lower and *= bpe into Cin addr
v_cndmask_b32 v33, -1, v33, s[58:59]               // LDC clip if OOB. offset
_buffer_load_b32 v34, v33, s[sgprSrdC:sgprSrdC+3], 0, offen offset:0 // load C for beta calc
_v_add_lshl_u32 v33, v3, v4, 0x2                   // scaleToBpe: accumulate d0 lower and *= bpe into Cin addr
v_cndmask_b32 v33, -1, v33, s[58:59]               // LDD clip if OOB. offset
/* (d1,vc1,d0,vc0)=(0,0,2,2) */
s_mov_b32 s54, 66                                  // coordOffset0 d0=2 vc0=2
_v_add_co_u32 v4, vcc, v0, s54                     // coord0.2: coord0 += d0*sg0*VW + vc0
	;; [unrolled: 11-line block ×3, first 2 shown]
v_cmp_lt_u32 s[54:55], v4, s[sgprSizeI]            // coord0 < size0
v_cmp_lt_u32 s[58:59], v1, s[sgprSizeJ]            // coord1 < size1
s_and_b64 s[58:59], s[54:55], s[58:59]             // in0 && in1
_v_add_lshl_u32 v39, v2, v4, 0x2                   // scaleToBpe: accumulate d0 lower and *= bpe into Cin addr
v_cndmask_b32 v39, -1, v39, s[58:59]               // LDC clip if OOB. offset
_buffer_load_b32 v40, v39, s[sgprSrdC:sgprSrdC+3], 0, offen offset:0 // load C for beta calc
_v_add_lshl_u32 v39, v3, v4, 0x2                   // scaleToBpe: accumulate d0 lower and *= bpe into Cin addr
v_cndmask_b32 v39, -1, v39, s[58:59]               // LDD clip if OOB. offset
/* (d1,vc1,d0,vc0)=(0,1,0,0) */
_v_add_co_u32 v1, vcc, v1, 1                       // coord1.1: coord1Vgpr += d1*sg1*VW + vc1

/* Fix for UseInitialStridesCD, emitAddressSetupCode */
_v_add_u32 v2, v2, s[sgprStrideC1J]                // ROWINC- Move cinRowPtr to next row
_v_add_u32 v3, v3, s[sgprStrideD1J]                // Move coutRowPtr to next row
v_cmp_lt_u32 s[54:55], v0, s[sgprSizeI]            // coord0 < size0
v_cmp_lt_u32 s[58:59], v1, s[sgprSizeJ]            // coord1 < size1
s_and_b64 s[58:59], s[54:55], s[58:59]             // in0 && in1
_v_add_lshl_u32 v42, v2, v0, 0x2                   // scaleToBpe: accumulate d0 lower and *= bpe into Cin addr
v_cndmask_b32 v42, -1, v42, s[58:59]               // LDC clip if OOB. offset
_buffer_load_b32 v43, v42, s[sgprSrdC:sgprSrdC+3], 0, offen offset:0 // load C for beta calc
_v_add_lshl_u32 v42, v3, v0, 0x2                   // scaleToBpe: accumulate d0 lower and *= bpe into Cin addr
v_cndmask_b32 v42, -1, v42, s[58:59]               // LDD clip if OOB. offset
/* (d1,vc1,d0,vc0)=(0,1,0,1) */
_v_add_co_u32 v4, vcc, v0, 1                       // coord0.1: coord0 += d0*sg0*VW + vc0
v_cmp_lt_u32 s[54:55], v4, s[sgprSizeI]            // coord0 < size0
v_cmp_lt_u32 s[58:59], v1, s[sgprSizeJ]            // coord1 < size1
s_and_b64 s[58:59], s[54:55], s[58:59]             // in0 && in1
_v_add_lshl_u32 v45, v2, v4, 0x2                   // scaleToBpe: accumulate d0 lower and *= bpe into Cin addr
v_cndmask_b32 v45, -1, v45, s[58:59]               // LDC clip if OOB. offset
_buffer_load_b32 v46, v45, s[sgprSrdC:sgprSrdC+3], 0, offen offset:0 // load C for beta calc
_v_add_lshl_u32 v45, v3, v4, 0x2                   // scaleToBpe: accumulate d0 lower and *= bpe into Cin addr
v_cndmask_b32 v45, -1, v45, s[58:59]               // LDD clip if OOB. offset
/* (d1,vc1,d0,vc0)=(0,1,0,2) */
_v_add_co_u32 v4, vcc, v0, 2                       // coord0.1: coord0 += d0*sg0*VW + vc0
	;; [unrolled: 10-line block ×3, first 2 shown]
v_cmp_lt_u32 s[54:55], v4, s[sgprSizeI]            // coord0 < size0
v_cmp_lt_u32 s[58:59], v1, s[sgprSizeJ]            // coord1 < size1
s_and_b64 s[58:59], s[54:55], s[58:59]             // in0 && in1
_v_add_lshl_u32 v51, v2, v4, 0x2                   // scaleToBpe: accumulate d0 lower and *= bpe into Cin addr
v_cndmask_b32 v51, -1, v51, s[58:59]               // LDC clip if OOB. offset
_buffer_load_b32 v52, v51, s[sgprSrdC:sgprSrdC+3], 0, offen offset:0 // load C for beta calc
_v_add_lshl_u32 v51, v3, v4, 0x2                   // scaleToBpe: accumulate d0 lower and *= bpe into Cin addr
v_cndmask_b32 v51, -1, v51, s[58:59]               // LDD clip if OOB. offset
/* (d1,vc1,d0,vc0)=(0,1,1,0) */
_v_add_co_u32 v4, vcc, v0, 32                      // coord0.1: coord0 += d0*sg0*VW + vc0
v_cmp_lt_u32 s[54:55], v4, s[sgprSizeI]            // coord0 < size0
v_cmp_lt_u32 s[58:59], v1, s[sgprSizeJ]            // coord1 < size1
s_and_b64 s[58:59], s[54:55], s[58:59]             // in0 && in1
_v_add_lshl_u32 v54, v2, v4, 0x2                   // scaleToBpe: accumulate d0 lower and *= bpe into Cin addr
v_cndmask_b32 v54, -1, v54, s[58:59]               // LDC clip if OOB. offset
_buffer_load_b32 v55, v54, s[sgprSrdC:sgprSrdC+3], 0, offen offset:0 // load C for beta calc
_v_add_lshl_u32 v54, v3, v4, 0x2                   // scaleToBpe: accumulate d0 lower and *= bpe into Cin addr
v_cndmask_b32 v54, -1, v54, s[58:59]               // LDD clip if OOB. offset
/* (d1,vc1,d0,vc0)=(0,1,1,1) */
_v_add_co_u32 v4, vcc, v0, 33                      // coord0.1: coord0 += d0*sg0*VW + vc0
	;; [unrolled: 10-line block ×5, first 2 shown]
v_cmp_lt_u32 s[54:55], v4, s[sgprSizeI]            // coord0 < size0
v_cmp_lt_u32 s[58:59], v1, s[sgprSizeJ]            // coord1 < size1
s_and_b64 s[58:59], s[54:55], s[58:59]             // in0 && in1
_v_add_lshl_u32 v66, v2, v4, 0x2                   // scaleToBpe: accumulate d0 lower and *= bpe into Cin addr
v_cndmask_b32 v66, -1, v66, s[58:59]               // LDC clip if OOB. offset
_buffer_load_b32 v67, v66, s[sgprSrdC:sgprSrdC+3], 0, offen offset:0 // load C for beta calc
_v_add_lshl_u32 v66, v3, v4, 0x2                   // scaleToBpe: accumulate d0 lower and *= bpe into Cin addr
v_cndmask_b32 v66, -1, v66, s[58:59]               // LDD clip if OOB. offset
/* (d1,vc1,d0,vc0)=(0,1,2,1) */
s_mov_b32 s54, 65                                  // coordOffset0 d0=2 vc0=1
_v_add_co_u32 v4, vcc, v0, s54                     // coord0.2: coord0 += d0*sg0*VW + vc0
v_cmp_lt_u32 s[54:55], v4, s[sgprSizeI]            // coord0 < size0
v_cmp_lt_u32 s[58:59], v1, s[sgprSizeJ]            // coord1 < size1
s_and_b64 s[58:59], s[54:55], s[58:59]             // in0 && in1
_v_add_lshl_u32 v69, v2, v4, 0x2                   // scaleToBpe: accumulate d0 lower and *= bpe into Cin addr
v_cndmask_b32 v69, -1, v69, s[58:59]               // LDC clip if OOB. offset
_buffer_load_b32 v70, v69, s[sgprSrdC:sgprSrdC+3], 0, offen offset:0 // load C for beta calc
_v_add_lshl_u32 v69, v3, v4, 0x2                   // scaleToBpe: accumulate d0 lower and *= bpe into Cin addr
v_cndmask_b32 v69, -1, v69, s[58:59]               // LDD clip if OOB. offset
/* (d1,vc1,d0,vc0)=(0,1,2,2) */
s_mov_b32 s54, 66                                  // coordOffset0 d0=2 vc0=2
_v_add_co_u32 v4, vcc, v0, s54                     // coord0.2: coord0 += d0*sg0*VW + vc0
	;; [unrolled: 11-line block ×3, first 2 shown]
v_cmp_lt_u32 s[54:55], v4, s[sgprSizeI]            // coord0 < size0
v_cmp_lt_u32 s[58:59], v1, s[sgprSizeJ]            // coord1 < size1
s_and_b64 s[58:59], s[54:55], s[58:59]             // in0 && in1
_v_add_lshl_u32 v75, v2, v4, 0x2                   // scaleToBpe: accumulate d0 lower and *= bpe into Cin addr
v_cndmask_b32 v75, -1, v75, s[58:59]               // LDC clip if OOB. offset
_buffer_load_b32 v76, v75, s[sgprSrdC:sgprSrdC+3], 0, offen offset:0 // load C for beta calc
_v_add_lshl_u32 v75, v3, v4, 0x2                   // scaleToBpe: accumulate d0 lower and *= bpe into Cin addr
v_cndmask_b32 v75, -1, v75, s[58:59]               // LDD clip if OOB. offset
/* (d1,vc1,d0,vc0)=(1,0,0,0) */
_v_add_co_u32 v1, vcc, v1, 63                      // coord1.1: coord1Vgpr += d1*sg1*VW + vc1

/* Fix for UseInitialStridesCD, emitAddressSetupCode */
s_mul_i32 s54, s[sgprStrideC1J], 63                // scale stride
_v_add_u32 v2, v2, s54                             // ROWINC- Move cinRowPtr to next row
s_mul_i32 s54, s[sgprStrideD1J], 63                // scale stride
_v_add_u32 v3, v3, s54                             // Move coutRowPtr to next row
v_cmp_lt_u32 s[54:55], v0, s[sgprSizeI]            // coord0 < size0
v_cmp_lt_u32 s[58:59], v1, s[sgprSizeJ]            // coord1 < size1
s_and_b64 s[58:59], s[54:55], s[58:59]             // in0 && in1
_v_add_lshl_u32 v78, v2, v0, 0x2                   // scaleToBpe: accumulate d0 lower and *= bpe into Cin addr
v_cndmask_b32 v78, -1, v78, s[58:59]               // LDC clip if OOB. offset
_buffer_load_b32 v79, v78, s[sgprSrdC:sgprSrdC+3], 0, offen offset:0 // load C for beta calc
_v_add_lshl_u32 v78, v3, v0, 0x2                   // scaleToBpe: accumulate d0 lower and *= bpe into Cin addr
v_cndmask_b32 v78, -1, v78, s[58:59]               // LDD clip if OOB. offset
/* (d1,vc1,d0,vc0)=(1,0,0,1) */
_v_add_co_u32 v4, vcc, v0, 1                       // coord0.1: coord0 += d0*sg0*VW + vc0
v_cmp_lt_u32 s[54:55], v4, s[sgprSizeI]            // coord0 < size0
v_cmp_lt_u32 s[58:59], v1, s[sgprSizeJ]            // coord1 < size1
s_and_b64 s[58:59], s[54:55], s[58:59]             // in0 && in1
_v_add_lshl_u32 v81, v2, v4, 0x2                   // scaleToBpe: accumulate d0 lower and *= bpe into Cin addr
v_cndmask_b32 v81, -1, v81, s[58:59]               // LDC clip if OOB. offset
_buffer_load_b32 v82, v81, s[sgprSrdC:sgprSrdC+3], 0, offen offset:0 // load C for beta calc
_v_add_lshl_u32 v81, v3, v4, 0x2                   // scaleToBpe: accumulate d0 lower and *= bpe into Cin addr
v_cndmask_b32 v81, -1, v81, s[58:59]               // LDD clip if OOB. offset
/* (d1,vc1,d0,vc0)=(1,0,0,2) */
_v_add_co_u32 v4, vcc, v0, 2                       // coord0.1: coord0 += d0*sg0*VW + vc0
	;; [unrolled: 10-line block ×3, first 2 shown]
v_cmp_lt_u32 s[54:55], v4, s[sgprSizeI]            // coord0 < size0
v_cmp_lt_u32 s[58:59], v1, s[sgprSizeJ]            // coord1 < size1
s_and_b64 s[58:59], s[54:55], s[58:59]             // in0 && in1
_v_add_lshl_u32 v87, v2, v4, 0x2                   // scaleToBpe: accumulate d0 lower and *= bpe into Cin addr
v_cndmask_b32 v87, -1, v87, s[58:59]               // LDC clip if OOB. offset
_buffer_load_b32 v91, v87, s[sgprSrdC:sgprSrdC+3], 0, offen offset:0 // load C for beta calc
_v_add_lshl_u32 v87, v3, v4, 0x2                   // scaleToBpe: accumulate d0 lower and *= bpe into Cin addr
v_cndmask_b32 v87, -1, v87, s[58:59]               // LDD clip if OOB. offset
/* (d1,vc1,d0,vc0)=(1,0,1,0) */
_v_add_co_u32 v4, vcc, v0, 32                      // coord0.1: coord0 += d0*sg0*VW + vc0
v_cmp_lt_u32 s[54:55], v4, s[sgprSizeI]            // coord0 < size0
v_cmp_lt_u32 s[58:59], v1, s[sgprSizeJ]            // coord1 < size1
s_and_b64 s[58:59], s[54:55], s[58:59]             // in0 && in1
_v_add_lshl_u32 v93, v2, v4, 0x2                   // scaleToBpe: accumulate d0 lower and *= bpe into Cin addr
v_cndmask_b32 v93, -1, v93, s[58:59]               // LDC clip if OOB. offset
_buffer_load_b32 v94, v93, s[sgprSrdC:sgprSrdC+3], 0, offen offset:0 // load C for beta calc
_v_add_lshl_u32 v93, v3, v4, 0x2                   // scaleToBpe: accumulate d0 lower and *= bpe into Cin addr
v_cndmask_b32 v93, -1, v93, s[58:59]               // LDD clip if OOB. offset
/* (d1,vc1,d0,vc0)=(1,0,1,1) */
_v_add_co_u32 v4, vcc, v0, 33                      // coord0.1: coord0 += d0*sg0*VW + vc0
	;; [unrolled: 10-line block ×4, first 2 shown]
v_cmp_lt_u32 s[54:55], v4, s[sgprSizeI]            // coord0 < size0
v_cmp_lt_u32 s[58:59], v1, s[sgprSizeJ]            // coord1 < size1
s_and_b64 s[58:59], s[54:55], s[58:59]             // in0 && in1
_v_add_lshl_u32 v102, v2, v4, 0x2                  // scaleToBpe: accumulate d0 lower and *= bpe into Cin addr
v_cndmask_b32 v102, -1, v102, s[58:59]             // LDC clip if OOB. offset
_buffer_load_b32 v103, v102, s[sgprSrdC:sgprSrdC+3], 0, offen offset:0 // load C for beta calc
_v_add_lshl_u32 v102, v3, v4, 0x2                  // scaleToBpe: accumulate d0 lower and *= bpe into Cin addr
v_cndmask_b32 v102, -1, v102, s[58:59]             // LDD clip if OOB. offset
/* (d1,vc1,d0,vc0)=(1,0,2,0) */
_v_add_co_u32 v4, vcc, v0, 64                      // coord0.1: coord0 += d0*sg0*VW + vc0
v_cmp_lt_u32 s[54:55], v4, s[sgprSizeI]            // coord0 < size0
v_cmp_lt_u32 s[58:59], v1, s[sgprSizeJ]            // coord1 < size1
s_and_b64 s[58:59], s[54:55], s[58:59]             // in0 && in1
_v_add_lshl_u32 v105, v2, v4, 0x2                  // scaleToBpe: accumulate d0 lower and *= bpe into Cin addr
v_cndmask_b32 v105, -1, v105, s[58:59]             // LDC clip if OOB. offset
_buffer_load_b32 v106, v105, s[sgprSrdC:sgprSrdC+3], 0, offen offset:0 // load C for beta calc
_v_add_lshl_u32 v105, v3, v4, 0x2                  // scaleToBpe: accumulate d0 lower and *= bpe into Cin addr
v_cndmask_b32 v105, -1, v105, s[58:59]             // LDD clip if OOB. offset
/* (d1,vc1,d0,vc0)=(1,0,2,1) */
s_mov_b32 s54, 65                                  // coordOffset0 d0=2 vc0=1
_v_add_co_u32 v4, vcc, v0, s54                     // coord0.2: coord0 += d0*sg0*VW + vc0
v_cmp_lt_u32 s[54:55], v4, s[sgprSizeI]            // coord0 < size0
v_cmp_lt_u32 s[58:59], v1, s[sgprSizeJ]            // coord1 < size1
s_and_b64 s[58:59], s[54:55], s[58:59]             // in0 && in1
_v_add_lshl_u32 v108, v2, v4, 0x2                  // scaleToBpe: accumulate d0 lower and *= bpe into Cin addr
v_cndmask_b32 v108, -1, v108, s[58:59]             // LDC clip if OOB. offset
_buffer_load_b32 v109, v108, s[sgprSrdC:sgprSrdC+3], 0, offen offset:0 // load C for beta calc
_v_add_lshl_u32 v108, v3, v4, 0x2                  // scaleToBpe: accumulate d0 lower and *= bpe into Cin addr
v_cndmask_b32 v108, -1, v108, s[58:59]             // LDD clip if OOB. offset
/* (d1,vc1,d0,vc0)=(1,0,2,2) */
s_mov_b32 s54, 66                                  // coordOffset0 d0=2 vc0=2
_v_add_co_u32 v4, vcc, v0, s54                     // coord0.2: coord0 += d0*sg0*VW + vc0
	;; [unrolled: 11-line block ×3, first 2 shown]
v_cmp_lt_u32 s[54:55], v4, s[sgprSizeI]            // coord0 < size0
v_cmp_lt_u32 s[58:59], v1, s[sgprSizeJ]            // coord1 < size1
s_and_b64 s[58:59], s[54:55], s[58:59]             // in0 && in1
_v_add_lshl_u32 v114, v2, v4, 0x2                  // scaleToBpe: accumulate d0 lower and *= bpe into Cin addr
v_cndmask_b32 v114, -1, v114, s[58:59]             // LDC clip if OOB. offset
_buffer_load_b32 v115, v114, s[sgprSrdC:sgprSrdC+3], 0, offen offset:0 // load C for beta calc
_v_add_lshl_u32 v114, v3, v4, 0x2                  // scaleToBpe: accumulate d0 lower and *= bpe into Cin addr
v_cndmask_b32 v114, -1, v114, s[58:59]             // LDD clip if OOB. offset
/* (d1,vc1,d0,vc0)=(1,1,0,0) */
_v_add_co_u32 v1, vcc, v1, 1                       // coord1.1: coord1Vgpr += d1*sg1*VW + vc1

/* Fix for UseInitialStridesCD, emitAddressSetupCode */
_v_add_u32 v2, v2, s[sgprStrideC1J]                // ROWINC- Move cinRowPtr to next row
_v_add_u32 v3, v3, s[sgprStrideD1J]                // Move coutRowPtr to next row
v_cmp_lt_u32 s[54:55], v0, s[sgprSizeI]            // coord0 < size0
v_cmp_lt_u32 s[58:59], v1, s[sgprSizeJ]            // coord1 < size1
s_and_b64 s[58:59], s[54:55], s[58:59]             // in0 && in1
_v_add_lshl_u32 v117, v2, v0, 0x2                  // scaleToBpe: accumulate d0 lower and *= bpe into Cin addr
v_cndmask_b32 v117, -1, v117, s[58:59]             // LDC clip if OOB. offset
_buffer_load_b32 v118, v117, s[sgprSrdC:sgprSrdC+3], 0, offen offset:0 // load C for beta calc
_v_add_lshl_u32 v117, v3, v0, 0x2                  // scaleToBpe: accumulate d0 lower and *= bpe into Cin addr
v_cndmask_b32 v117, -1, v117, s[58:59]             // LDD clip if OOB. offset
/* (d1,vc1,d0,vc0)=(1,1,0,1) */
_v_add_co_u32 v4, vcc, v0, 1                       // coord0.1: coord0 += d0*sg0*VW + vc0
v_cmp_lt_u32 s[54:55], v4, s[sgprSizeI]            // coord0 < size0
v_cmp_lt_u32 s[58:59], v1, s[sgprSizeJ]            // coord1 < size1
s_and_b64 s[58:59], s[54:55], s[58:59]             // in0 && in1
_v_add_lshl_u32 v120, v2, v4, 0x2                  // scaleToBpe: accumulate d0 lower and *= bpe into Cin addr
v_cndmask_b32 v120, -1, v120, s[58:59]             // LDC clip if OOB. offset
_buffer_load_b32 v121, v120, s[sgprSrdC:sgprSrdC+3], 0, offen offset:0 // load C for beta calc
_v_add_lshl_u32 v120, v3, v4, 0x2                  // scaleToBpe: accumulate d0 lower and *= bpe into Cin addr
v_cndmask_b32 v120, -1, v120, s[58:59]             // LDD clip if OOB. offset
/* (d1,vc1,d0,vc0)=(1,1,0,2) */
_v_add_co_u32 v4, vcc, v0, 2                       // coord0.1: coord0 += d0*sg0*VW + vc0
	;; [unrolled: 10-line block ×3, first 2 shown]
v_cmp_lt_u32 s[54:55], v4, s[sgprSizeI]            // coord0 < size0
v_cmp_lt_u32 s[58:59], v1, s[sgprSizeJ]            // coord1 < size1
s_and_b64 s[58:59], s[54:55], s[58:59]             // in0 && in1
_v_add_lshl_u32 v126, v2, v4, 0x2                  // scaleToBpe: accumulate d0 lower and *= bpe into Cin addr
v_cndmask_b32 v126, -1, v126, s[58:59]             // LDC clip if OOB. offset
_buffer_load_b32 v127, v126, s[sgprSrdC:sgprSrdC+3], 0, offen offset:0 // load C for beta calc
_v_add_lshl_u32 v126, v3, v4, 0x2                  // scaleToBpe: accumulate d0 lower and *= bpe into Cin addr
v_cndmask_b32 v126, -1, v126, s[58:59]             // LDD clip if OOB. offset
/* (d1,vc1,d0,vc0)=(1,1,1,0) */
_v_add_co_u32 v4, vcc, v0, 32                      // coord0.1: coord0 += d0*sg0*VW + vc0
v_cmp_lt_u32 s[54:55], v4, s[sgprSizeI]            // coord0 < size0
v_cmp_lt_u32 s[58:59], v1, s[sgprSizeJ]            // coord1 < size1
s_and_b64 s[58:59], s[54:55], s[58:59]             // in0 && in1
_v_add_lshl_u32 v129, v2, v4, 0x2                  // scaleToBpe: accumulate d0 lower and *= bpe into Cin addr
v_cndmask_b32 v129, -1, v129, s[58:59]             // LDC clip if OOB. offset
_buffer_load_b32 v130, v129, s[sgprSrdC:sgprSrdC+3], 0, offen offset:0 // load C for beta calc
_v_add_lshl_u32 v129, v3, v4, 0x2                  // scaleToBpe: accumulate d0 lower and *= bpe into Cin addr
v_cndmask_b32 v129, -1, v129, s[58:59]             // LDD clip if OOB. offset
/* (d1,vc1,d0,vc0)=(1,1,1,1) */
_v_add_co_u32 v4, vcc, v0, 33                      // coord0.1: coord0 += d0*sg0*VW + vc0
	;; [unrolled: 10-line block ×5, first 2 shown]
v_cmp_lt_u32 s[54:55], v4, s[sgprSizeI]            // coord0 < size0
v_cmp_lt_u32 s[58:59], v1, s[sgprSizeJ]            // coord1 < size1
s_and_b64 s[58:59], s[54:55], s[58:59]             // in0 && in1
_v_add_lshl_u32 v141, v2, v4, 0x2                  // scaleToBpe: accumulate d0 lower and *= bpe into Cin addr
v_cndmask_b32 v141, -1, v141, s[58:59]             // LDC clip if OOB. offset
_buffer_load_b32 v142, v141, s[sgprSrdC:sgprSrdC+3], 0, offen offset:0 // load C for beta calc
_v_add_lshl_u32 v141, v3, v4, 0x2                  // scaleToBpe: accumulate d0 lower and *= bpe into Cin addr
v_cndmask_b32 v141, -1, v141, s[58:59]             // LDD clip if OOB. offset
/* (d1,vc1,d0,vc0)=(1,1,2,1) */
s_mov_b32 s54, 65                                  // coordOffset0 d0=2 vc0=1
_v_add_co_u32 v4, vcc, v0, s54                     // coord0.2: coord0 += d0*sg0*VW + vc0
v_cmp_lt_u32 s[54:55], v4, s[sgprSizeI]            // coord0 < size0
v_cmp_lt_u32 s[58:59], v1, s[sgprSizeJ]            // coord1 < size1
s_and_b64 s[58:59], s[54:55], s[58:59]             // in0 && in1
_v_add_lshl_u32 v144, v2, v4, 0x2                  // scaleToBpe: accumulate d0 lower and *= bpe into Cin addr
v_cndmask_b32 v144, -1, v144, s[58:59]             // LDC clip if OOB. offset
_buffer_load_b32 v145, v144, s[sgprSrdC:sgprSrdC+3], 0, offen offset:0 // load C for beta calc
_v_add_lshl_u32 v144, v3, v4, 0x2                  // scaleToBpe: accumulate d0 lower and *= bpe into Cin addr
v_cndmask_b32 v144, -1, v144, s[58:59]             // LDD clip if OOB. offset
/* (d1,vc1,d0,vc0)=(1,1,2,2) */
s_mov_b32 s54, 66                                  // coordOffset0 d0=2 vc0=2
_v_add_co_u32 v4, vcc, v0, s54                     // coord0.2: coord0 += d0*sg0*VW + vc0
	;; [unrolled: 11-line block ×3, first 2 shown]
v_cmp_lt_u32 s[54:55], v4, s[sgprSizeI]            // coord0 < size0
v_cmp_lt_u32 s[58:59], v1, s[sgprSizeJ]            // coord1 < size1
s_and_b64 s[58:59], s[54:55], s[58:59]             // in0 && in1
_v_add_lshl_u32 v150, v2, v4, 0x2                  // scaleToBpe: accumulate d0 lower and *= bpe into Cin addr
v_cndmask_b32 v150, -1, v150, s[58:59]             // LDC clip if OOB. offset
_buffer_load_b32 v151, v150, s[sgprSrdC:sgprSrdC+3], 0, offen offset:0 // load C for beta calc
_v_add_lshl_u32 v150, v3, v4, 0x2                  // scaleToBpe: accumulate d0 lower and *= bpe into Cin addr
v_cndmask_b32 v150, -1, v150, s[58:59]             // LDD clip if OOB. offset
v_accvgpr_read_b32 v[vgprValuC+8], acc0 // copy acc to vreg[0]
v_accvgpr_read_b32 v[vgprValuC+11], acc1 // copy acc to vreg[1]
v_accvgpr_read_b32 v[vgprValuC+14], acc2 // copy acc to vreg[2]
v_accvgpr_read_b32 v[vgprValuC+17], acc3 // copy acc to vreg[3]
v_accvgpr_read_b32 v[vgprValuC+20], acc4 // copy acc to vreg[4]
v_accvgpr_read_b32 v[vgprValuC+23], acc5 // copy acc to vreg[5]
v_accvgpr_read_b32 v[vgprValuC+26], acc6 // copy acc to vreg[6]
v_accvgpr_read_b32 v[vgprValuC+29], acc7 // copy acc to vreg[7]
v_accvgpr_read_b32 v[vgprValuC+32], acc8 // copy acc to vreg[8]
v_accvgpr_read_b32 v[vgprValuC+35], acc9 // copy acc to vreg[9]
v_accvgpr_read_b32 v[vgprValuC+38], acc10 // copy acc to vreg[10]
v_accvgpr_read_b32 v[vgprValuC+41], acc11 // copy acc to vreg[11]
v_accvgpr_read_b32 v[vgprValuC+44], acc12 // copy acc to vreg[12]
v_accvgpr_read_b32 v[vgprValuC+47], acc13 // copy acc to vreg[13]
v_accvgpr_read_b32 v[vgprValuC+50], acc14 // copy acc to vreg[14]
v_accvgpr_read_b32 v[vgprValuC+53], acc15 // copy acc to vreg[15]
v_accvgpr_read_b32 v[vgprValuC+56], acc16 // copy acc to vreg[16]
v_accvgpr_read_b32 v[vgprValuC+59], acc17 // copy acc to vreg[17]
v_accvgpr_read_b32 v[vgprValuC+62], acc18 // copy acc to vreg[18]
v_accvgpr_read_b32 v[vgprValuC+65], acc19 // copy acc to vreg[19]
v_accvgpr_read_b32 v[vgprValuC+68], acc20 // copy acc to vreg[20]
v_accvgpr_read_b32 v[vgprValuC+71], acc21 // copy acc to vreg[21]
v_accvgpr_read_b32 v[vgprValuC+74], acc22 // copy acc to vreg[22]
v_accvgpr_read_b32 v[vgprValuC+77], acc23 // copy acc to vreg[23]
v_accvgpr_read_b32 v[vgprValuC+80], acc24 // copy acc to vreg[24]
v_accvgpr_read_b32 v[vgprValuC+83], acc25 // copy acc to vreg[25]
v_accvgpr_read_b32 v[vgprValuC+86], acc26 // copy acc to vreg[26]
v_accvgpr_read_b32 v[vgprValuC+92], acc27 // copy acc to vreg[27]
v_accvgpr_read_b32 v[vgprValuC+95], acc28 // copy acc to vreg[28]
v_accvgpr_read_b32 v[vgprValuC+98], acc29 // copy acc to vreg[29]
v_accvgpr_read_b32 v[vgprValuC+101], acc30 // copy acc to vreg[30]
v_accvgpr_read_b32 v[vgprValuC+104], acc31 // copy acc to vreg[31]
v_accvgpr_read_b32 v[vgprValuC+107], acc32 // copy acc to vreg[32]
v_accvgpr_read_b32 v[vgprValuC+110], acc33 // copy acc to vreg[33]
v_accvgpr_read_b32 v[vgprValuC+113], acc34 // copy acc to vreg[34]
v_accvgpr_read_b32 v[vgprValuC+116], acc35 // copy acc to vreg[35]
v_accvgpr_read_b32 v[vgprValuC+119], acc36 // copy acc to vreg[36]
v_accvgpr_read_b32 v[vgprValuC+122], acc37 // copy acc to vreg[37]
v_accvgpr_read_b32 v[vgprValuC+125], acc38 // copy acc to vreg[38]
v_accvgpr_read_b32 v[vgprValuC+128], acc39 // copy acc to vreg[39]
v_accvgpr_read_b32 v[vgprValuC+131], acc40 // copy acc to vreg[40]
v_accvgpr_read_b32 v[vgprValuC+134], acc41 // copy acc to vreg[41]
v_accvgpr_read_b32 v[vgprValuC+137], acc42 // copy acc to vreg[42]
v_accvgpr_read_b32 v[vgprValuC+140], acc43 // copy acc to vreg[43]
v_accvgpr_read_b32 v[vgprValuC+143], acc44 // copy acc to vreg[44]
v_accvgpr_read_b32 v[vgprValuC+146], acc45 // copy acc to vreg[45]
v_accvgpr_read_b32 v[vgprValuC+149], acc46 // copy acc to vreg[46]
v_accvgpr_read_b32 v[vgprValuC+152], acc47 // copy acc to vreg[47]
s_nop 1                                            // 2 wait states required before reading vgpr

/* rC *= alpha batchElements=[(0, 0, 0, 0), (0, 0, 0, 1), (0, 0, 0, 2), (0, 0, 0, 3), (0, 1, 0, 0), (0, 1, 0, 1), (0, 1, 0, 2), (0, 1, 0, 3), (0, 2, 0, 0), (0, 2, 0, 1), (0, 2, 0, 2), (0, 2, 0, 3), (0, 0, 1, 0), (0, 0, 1, 1), (0, 0, 1, 2), (0, 0, 1, 3), (0, 1, 1, 0), (0, 1, 1, 1), (0, 1, 1, 2), (0, 1, 1, 3), (0, 2, 1, 0), (0, 2, 1, 1), (0, 2, 1, 2), (0, 2, 1, 3), (1, 0, 0, 0), (1, 0, 0, 1), (1, 0, 0, 2), (1, 0, 0, 3), (1, 1, 0, 0), (1, 1, 0, 1), (1, 1, 0, 2), (1, 1, 0, 3), (1, 2, 0, 0), (1, 2, 0, 1), (1, 2, 0, 2), (1, 2, 0, 3), (1, 0, 1, 0), (1, 0, 1, 1), (1, 0, 1, 2), (1, 0, 1, 3), (1, 1, 1, 0), (1, 1, 1, 1), (1, 1, 1, 2), (1, 1, 1, 3), (1, 2, 1, 0), (1, 2, 1, 1), (1, 2, 1, 2), (1, 2, 1, 3)] */
v_mul_f32 v[vgprValuC+8], s[sgprAlpha], v[vgprValuC+8] // *= alpha
v_mul_f32 v[vgprValuC+11], s[sgprAlpha], v[vgprValuC+11] // *= alpha
	;; [unrolled: 1-line block ×48, first 2 shown]
s_waitcnt vmcnt(0)                                 // wait C

/* apply mask, calc new C and issue writes */
_v_mac_f32 v[vgprValuC+8], v7, s[sgprBeta]         // finalSum = sum*alpha + C*beta
_buffer_store_b32 v8, v6, s[sgprSrdD:sgprSrdD+3], 0, offen, offset:0 // store D
_v_mac_f32 v[vgprValuC+11], v10, s[sgprBeta]       // finalSum = sum*alpha + C*beta
_buffer_store_b32 v11, v9, s[sgprSrdD:sgprSrdD+3], 0, offen, offset:0 // store D
_v_mac_f32 v[vgprValuC+14], v13, s[sgprBeta]       // finalSum = sum*alpha + C*beta
	;; [unrolled: 2-line block ×29, first 2 shown]
_buffer_store_b32 v98, v96, s[sgprSrdD:sgprSrdD+3], 0, offen, offset:0 // store D
_v_mac_f32 v[vgprValuC+101], v100, s[sgprBeta]     // finalSum = sum*alpha + C*beta
_buffer_store_b32 v101, v99, s[sgprSrdD:sgprSrdD+3], 0, offen, offset:0 // store D
_v_mac_f32 v[vgprValuC+104], v103, s[sgprBeta]     // finalSum = sum*alpha + C*beta
	;; [unrolled: 2-line block ×18, first 2 shown]
_buffer_store_b32 v152, v150, s[sgprSrdD:sgprSrdD+3], 0, offen, offset:0 // store D
s_nop 0                                            // 1 wait state required when next inst writes vgprs held by previous dwordx4 store inst
s_branch label_GW_End_42                           // jump to end
label_GW_End_42:

label_0047:  /// KernelEnd
s_endpgm                                           // Kernel End

